;; amdgpu-corpus repo=ROCm/rocFFT kind=compiled arch=gfx1030 opt=O3
	.text
	.amdgcn_target "amdgcn-amd-amdhsa--gfx1030"
	.amdhsa_code_object_version 6
	.protected	bluestein_single_fwd_len546_dim1_half_op_CI_CI ; -- Begin function bluestein_single_fwd_len546_dim1_half_op_CI_CI
	.globl	bluestein_single_fwd_len546_dim1_half_op_CI_CI
	.p2align	8
	.type	bluestein_single_fwd_len546_dim1_half_op_CI_CI,@function
bluestein_single_fwd_len546_dim1_half_op_CI_CI: ; @bluestein_single_fwd_len546_dim1_half_op_CI_CI
; %bb.0:
	s_load_dwordx4 s[12:15], s[4:5], 0x28
	v_mul_u32_u24_e32 v1, 0x691, v0
	v_lshrrev_b32_e32 v1, 16, v1
	v_mad_u64_u32 v[6:7], null, s6, 3, v[1:2]
	v_mov_b32_e32 v7, 0
                                        ; kill: def $vgpr2 killed $sgpr0 killed $exec
	s_mov_b32 s0, exec_lo
	s_waitcnt lgkmcnt(0)
	v_cmpx_gt_u64_e64 s[12:13], v[6:7]
	s_cbranch_execz .LBB0_23
; %bb.1:
	s_clause 0x1
	s_load_dwordx4 s[8:11], s[4:5], 0x18
	s_load_dwordx2 s[12:13], s[4:5], 0x0
	v_mul_lo_u16 v1, v1, 39
	v_sub_nc_u16 v9, v0, v1
	v_and_b32_e32 v56, 0xffff, v9
	s_waitcnt lgkmcnt(0)
	s_load_dwordx4 s[0:3], s[8:9], 0x0
	s_waitcnt lgkmcnt(0)
	v_mad_u64_u32 v[0:1], null, s2, v6, 0
	v_mad_u64_u32 v[2:3], null, s0, v56, 0
	s_mul_hi_u32 s6, s0, 42
	s_mul_i32 s2, s0, 42
	v_mad_u64_u32 v[4:5], null, s3, v6, v[1:2]
	s_mul_i32 s3, s1, 42
	v_lshlrev_b32_e32 v5, 2, v56
	s_add_i32 s3, s6, s3
	s_lshl_b64 s[2:3], s[2:3], 2
	v_mad_u64_u32 v[7:8], null, s1, v56, v[3:4]
	v_mov_b32_e32 v1, v4
	global_load_dword v59, v5, s[12:13]
	v_lshlrev_b64 v[0:1], 2, v[0:1]
	v_mov_b32_e32 v3, v7
	v_add_co_u32 v0, vcc_lo, s14, v0
	v_lshlrev_b64 v[2:3], 2, v[2:3]
	v_add_co_ci_u32_e32 v1, vcc_lo, s15, v1, vcc_lo
	v_add_co_u32 v0, vcc_lo, v0, v2
	v_add_co_ci_u32_e32 v1, vcc_lo, v1, v3, vcc_lo
	v_add_co_u32 v2, vcc_lo, v0, s2
	v_add_co_ci_u32_e32 v3, vcc_lo, s3, v1, vcc_lo
	s_clause 0x1
	global_load_dword v7, v[0:1], off
	global_load_dword v8, v[2:3], off
	v_add_co_u32 v0, vcc_lo, v2, s2
	v_add_co_ci_u32_e32 v1, vcc_lo, s3, v3, vcc_lo
	v_add_co_u32 v2, vcc_lo, v0, s2
	v_add_co_ci_u32_e32 v3, vcc_lo, s3, v1, vcc_lo
	s_clause 0x1
	global_load_dword v58, v5, s[12:13] offset:168
	global_load_dword v57, v5, s[12:13] offset:336
	s_clause 0x1
	global_load_dword v10, v[0:1], off
	global_load_dword v11, v[2:3], off
	v_add_co_u32 v0, vcc_lo, v2, s2
	v_add_co_ci_u32_e32 v1, vcc_lo, s3, v3, vcc_lo
	s_clause 0x2
	global_load_dword v55, v5, s[12:13] offset:504
	global_load_dword v54, v5, s[12:13] offset:672
	;; [unrolled: 1-line block ×3, first 2 shown]
	v_add_co_u32 v2, vcc_lo, v0, s2
	v_add_co_ci_u32_e32 v3, vcc_lo, s3, v1, vcc_lo
	global_load_dword v12, v[0:1], off
	v_add_co_u32 v0, vcc_lo, v2, s2
	v_add_co_ci_u32_e32 v1, vcc_lo, s3, v3, vcc_lo
	global_load_dword v13, v[2:3], off
	v_add_co_u32 v2, vcc_lo, v0, s2
	v_add_co_ci_u32_e32 v3, vcc_lo, s3, v1, vcc_lo
	s_clause 0x1
	global_load_dword v52, v5, s[12:13] offset:1008
	global_load_dword v51, v5, s[12:13] offset:1176
	global_load_dword v14, v[0:1], off
	global_load_dword v15, v[2:3], off
	v_add_co_u32 v0, vcc_lo, v2, s2
	v_add_co_ci_u32_e32 v1, vcc_lo, s3, v3, vcc_lo
	s_clause 0x1
	global_load_dword v50, v5, s[12:13] offset:1344
	global_load_dword v49, v5, s[12:13] offset:1512
	v_add_co_u32 v2, vcc_lo, v0, s2
	v_add_co_ci_u32_e32 v3, vcc_lo, s3, v1, vcc_lo
	global_load_dword v16, v[0:1], off
	v_add_co_u32 v0, vcc_lo, v2, s2
	v_add_co_ci_u32_e32 v1, vcc_lo, s3, v3, vcc_lo
	global_load_dword v17, v[2:3], off
	;; [unrolled: 3-line block ×3, first 2 shown]
	v_add_co_u32 v0, vcc_lo, v2, s2
	v_add_co_ci_u32_e32 v1, vcc_lo, s3, v3, vcc_lo
	global_load_dword v48, v5, s[12:13] offset:1680
	global_load_dword v3, v[2:3], off
	global_load_dword v19, v[0:1], off
	s_clause 0x1
	global_load_dword v47, v5, s[12:13] offset:1848
	global_load_dword v46, v5, s[12:13] offset:2016
	v_mul_hi_u32 v2, 0xaaaaaaab, v6
	s_load_dwordx2 s[6:7], s[4:5], 0x38
	s_load_dwordx4 s[8:11], s[10:11], 0x0
	v_add_co_u32 v4, s12, s12, v5
	v_cmp_gt_u16_e32 vcc_lo, 3, v9
	v_lshrrev_b32_e32 v2, 1, v2
	v_lshl_add_u32 v2, v2, 1, v2
	v_sub_nc_u32_e32 v2, v6, v2
	v_mul_u32_u24_e32 v2, 0x222, v2
	v_lshlrev_b32_e32 v60, 2, v2
	v_add_nc_u32_e32 v45, v5, v60
	v_add_co_ci_u32_e64 v5, null, s13, 0, s12
	v_add_nc_u32_e32 v2, 0x200, v45
	s_waitcnt vmcnt(24)
	v_lshrrev_b32_e32 v20, 16, v7
	v_mul_f16_sdwa v21, v59, v7 dst_sel:DWORD dst_unused:UNUSED_PAD src0_sel:WORD_1 src1_sel:DWORD
	s_waitcnt vmcnt(23)
	v_lshrrev_b32_e32 v23, 16, v8
	v_mul_f16_sdwa v22, v59, v20 dst_sel:DWORD dst_unused:UNUSED_PAD src0_sel:WORD_1 src1_sel:DWORD
	v_fma_f16 v20, v59, v20, -v21
	s_waitcnt vmcnt(22)
	v_mul_f16_sdwa v24, v58, v8 dst_sel:DWORD dst_unused:UNUSED_PAD src0_sel:WORD_1 src1_sel:DWORD
	v_fmac_f16_e32 v22, v59, v7
	v_mul_f16_sdwa v7, v58, v23 dst_sel:DWORD dst_unused:UNUSED_PAD src0_sel:WORD_1 src1_sel:DWORD
	s_waitcnt vmcnt(20)
	v_lshrrev_b32_e32 v21, 16, v10
	v_fma_f16 v23, v58, v23, -v24
	v_mul_f16_sdwa v24, v57, v10 dst_sel:DWORD dst_unused:UNUSED_PAD src0_sel:WORD_1 src1_sel:DWORD
	v_pack_b32_f16 v20, v22, v20
	v_fmac_f16_e32 v7, v58, v8
	v_mul_f16_sdwa v8, v57, v21 dst_sel:DWORD dst_unused:UNUSED_PAD src0_sel:WORD_1 src1_sel:DWORD
	s_waitcnt vmcnt(19)
	v_lshrrev_b32_e32 v22, 16, v11
	s_waitcnt vmcnt(18)
	v_mul_f16_sdwa v25, v55, v11 dst_sel:DWORD dst_unused:UNUSED_PAD src0_sel:WORD_1 src1_sel:DWORD
	v_fma_f16 v21, v57, v21, -v24
	v_pack_b32_f16 v7, v7, v23
	v_fmac_f16_e32 v8, v57, v10
	v_mul_f16_sdwa v10, v55, v22 dst_sel:DWORD dst_unused:UNUSED_PAD src0_sel:WORD_1 src1_sel:DWORD
	s_waitcnt vmcnt(15)
	v_lshrrev_b32_e32 v23, 16, v12
	v_fma_f16 v22, v55, v22, -v25
	v_mul_f16_sdwa v24, v54, v12 dst_sel:DWORD dst_unused:UNUSED_PAD src0_sel:WORD_1 src1_sel:DWORD
	ds_write2_b32 v45, v20, v7 offset1:42
	v_pack_b32_f16 v7, v8, v21
	v_fmac_f16_e32 v10, v55, v11
	v_mul_f16_sdwa v8, v54, v23 dst_sel:DWORD dst_unused:UNUSED_PAD src0_sel:WORD_1 src1_sel:DWORD
	s_waitcnt vmcnt(14)
	v_lshrrev_b32_e32 v11, 16, v13
	v_mul_f16_sdwa v20, v53, v13 dst_sel:DWORD dst_unused:UNUSED_PAD src0_sel:WORD_1 src1_sel:DWORD
	v_fma_f16 v21, v54, v23, -v24
	v_pack_b32_f16 v10, v10, v22
	v_fmac_f16_e32 v8, v54, v12
	v_mul_f16_sdwa v12, v53, v11 dst_sel:DWORD dst_unused:UNUSED_PAD src0_sel:WORD_1 src1_sel:DWORD
	v_fma_f16 v11, v53, v11, -v20
	s_waitcnt vmcnt(11)
	v_lshrrev_b32_e32 v20, 16, v14
	v_mul_f16_sdwa v22, v52, v14 dst_sel:DWORD dst_unused:UNUSED_PAD src0_sel:WORD_1 src1_sel:DWORD
	ds_write2_b32 v45, v7, v10 offset0:84 offset1:126
	v_pack_b32_f16 v7, v8, v21
	v_fmac_f16_e32 v12, v53, v13
	v_mul_f16_sdwa v8, v52, v20 dst_sel:DWORD dst_unused:UNUSED_PAD src0_sel:WORD_1 src1_sel:DWORD
	s_waitcnt vmcnt(10)
	v_lshrrev_b32_e32 v10, 16, v15
	v_mul_f16_sdwa v13, v51, v15 dst_sel:DWORD dst_unused:UNUSED_PAD src0_sel:WORD_1 src1_sel:DWORD
	v_fma_f16 v20, v52, v20, -v22
	v_pack_b32_f16 v11, v12, v11
	v_fmac_f16_e32 v8, v52, v14
	v_mul_f16_sdwa v12, v51, v10 dst_sel:DWORD dst_unused:UNUSED_PAD src0_sel:WORD_1 src1_sel:DWORD
	v_fma_f16 v10, v51, v10, -v13
	s_waitcnt vmcnt(7)
	v_lshrrev_b32_e32 v13, 16, v16
	v_mul_f16_sdwa v14, v50, v16 dst_sel:DWORD dst_unused:UNUSED_PAD src0_sel:WORD_1 src1_sel:DWORD
	ds_write2_b32 v45, v7, v11 offset0:168 offset1:210
	v_pack_b32_f16 v7, v8, v20
	v_fmac_f16_e32 v12, v51, v15
	v_mul_f16_sdwa v8, v50, v13 dst_sel:DWORD dst_unused:UNUSED_PAD src0_sel:WORD_1 src1_sel:DWORD
	s_waitcnt vmcnt(6)
	v_lshrrev_b32_e32 v11, 16, v17
	v_mul_f16_sdwa v15, v49, v17 dst_sel:DWORD dst_unused:UNUSED_PAD src0_sel:WORD_1 src1_sel:DWORD
	v_fma_f16 v13, v50, v13, -v14
	v_pack_b32_f16 v10, v12, v10
	v_fmac_f16_e32 v8, v50, v16
	v_mul_f16_sdwa v12, v49, v11 dst_sel:DWORD dst_unused:UNUSED_PAD src0_sel:WORD_1 src1_sel:DWORD
	v_fma_f16 v11, v49, v11, -v15
	s_waitcnt vmcnt(5)
	v_lshrrev_b32_e32 v14, 16, v18
	s_waitcnt vmcnt(4)
	v_mul_f16_sdwa v15, v48, v18 dst_sel:DWORD dst_unused:UNUSED_PAD src0_sel:WORD_1 src1_sel:DWORD
	v_pack_b32_f16 v8, v8, v13
	s_waitcnt vmcnt(3)
	v_lshrrev_b32_e32 v13, 16, v3
	s_waitcnt vmcnt(2)
	v_lshrrev_b32_e32 v16, 16, v19
	v_fmac_f16_e32 v12, v49, v17
	v_mul_f16_sdwa v17, v48, v14 dst_sel:DWORD dst_unused:UNUSED_PAD src0_sel:WORD_1 src1_sel:DWORD
	v_fma_f16 v14, v48, v14, -v15
	s_waitcnt vmcnt(1)
	v_mul_f16_sdwa v15, v47, v3 dst_sel:DWORD dst_unused:UNUSED_PAD src0_sel:WORD_1 src1_sel:DWORD
	v_mul_f16_sdwa v20, v47, v13 dst_sel:DWORD dst_unused:UNUSED_PAD src0_sel:WORD_1 src1_sel:DWORD
	s_waitcnt vmcnt(0)
	v_mul_f16_sdwa v21, v46, v16 dst_sel:DWORD dst_unused:UNUSED_PAD src0_sel:WORD_1 src1_sel:DWORD
	v_mul_f16_sdwa v22, v46, v19 dst_sel:DWORD dst_unused:UNUSED_PAD src0_sel:WORD_1 src1_sel:DWORD
	v_fmac_f16_e32 v17, v48, v18
	v_fma_f16 v13, v47, v13, -v15
	v_fmac_f16_e32 v20, v47, v3
	v_fmac_f16_e32 v21, v46, v19
	v_fma_f16 v15, v46, v16, -v22
	v_add_nc_u32_e32 v3, 0x400, v45
	v_pack_b32_f16 v11, v12, v11
	v_pack_b32_f16 v12, v17, v14
	;; [unrolled: 1-line block ×4, first 2 shown]
	ds_write2_b32 v2, v7, v10 offset0:124 offset1:166
	ds_write2_b32 v3, v8, v11 offset0:80 offset1:122
	;; [unrolled: 1-line block ×3, first 2 shown]
	ds_write_b32 v45, v14 offset:2016
	s_and_saveexec_b32 s12, vcc_lo
	s_cbranch_execz .LBB0_3
; %bb.2:
	v_mad_u64_u32 v[0:1], null, 0xfffff8bc, s0, v[0:1]
	s_mulk_i32 s1, 0xf8bc
	s_clause 0x2
	global_load_dword v11, v[4:5], off offset:156
	global_load_dword v12, v[4:5], off offset:324
	;; [unrolled: 1-line block ×3, first 2 shown]
	s_sub_i32 s0, s1, s0
	v_add_nc_u32_e32 v1, s0, v1
	v_add_co_u32 v7, s0, v0, s2
	v_add_co_ci_u32_e64 v8, s0, s3, v1, s0
	global_load_dword v14, v[0:1], off
	v_add_co_u32 v0, s0, v7, s2
	v_add_co_ci_u32_e64 v1, s0, s3, v8, s0
	global_load_dword v15, v[7:8], off
	v_add_co_u32 v7, s0, v0, s2
	v_add_co_ci_u32_e64 v8, s0, s3, v1, s0
	global_load_dword v16, v[0:1], off
	v_add_co_u32 v0, s0, v7, s2
	v_add_co_ci_u32_e64 v1, s0, s3, v8, s0
	global_load_dword v17, v[7:8], off
	v_add_co_u32 v7, s0, v0, s2
	v_add_co_ci_u32_e64 v8, s0, s3, v1, s0
	s_clause 0x4
	global_load_dword v18, v[4:5], off offset:660
	global_load_dword v19, v[4:5], off offset:828
	;; [unrolled: 1-line block ×5, first 2 shown]
	global_load_dword v23, v[0:1], off
	global_load_dword v24, v[7:8], off
	v_add_co_u32 v0, s0, v7, s2
	v_add_co_ci_u32_e64 v1, s0, s3, v8, s0
	s_clause 0x2
	global_load_dword v25, v[4:5], off offset:1500
	global_load_dword v26, v[4:5], off offset:1668
	;; [unrolled: 1-line block ×3, first 2 shown]
	v_add_co_u32 v7, s0, v0, s2
	v_add_co_ci_u32_e64 v8, s0, s3, v1, s0
	global_load_dword v28, v[0:1], off
	v_add_co_u32 v0, s0, v7, s2
	v_add_co_ci_u32_e64 v1, s0, s3, v8, s0
	global_load_dword v29, v[7:8], off
	;; [unrolled: 3-line block ×5, first 2 shown]
	v_add_co_u32 v0, s0, v7, s2
	v_add_co_ci_u32_e64 v1, s0, s3, v8, s0
	v_add_co_u32 v9, s0, 0x800, v4
	v_add_co_ci_u32_e64 v10, s0, 0, v5, s0
	global_load_dword v7, v[7:8], off
	global_load_dword v0, v[0:1], off
	s_clause 0x1
	global_load_dword v1, v[4:5], off offset:2004
	global_load_dword v8, v[9:10], off offset:124
	s_waitcnt vmcnt(22)
	v_lshrrev_b32_e32 v9, 16, v14
	v_mul_f16_sdwa v10, v11, v14 dst_sel:DWORD dst_unused:UNUSED_PAD src0_sel:WORD_1 src1_sel:DWORD
	v_mul_f16_sdwa v33, v11, v9 dst_sel:DWORD dst_unused:UNUSED_PAD src0_sel:WORD_1 src1_sel:DWORD
	s_waitcnt vmcnt(21)
	v_lshrrev_b32_e32 v34, 16, v15
	v_mul_f16_sdwa v35, v12, v15 dst_sel:DWORD dst_unused:UNUSED_PAD src0_sel:WORD_1 src1_sel:DWORD
	v_fma_f16 v9, v11, v9, -v10
	v_fmac_f16_e32 v33, v11, v14
	v_mul_f16_sdwa v10, v12, v34 dst_sel:DWORD dst_unused:UNUSED_PAD src0_sel:WORD_1 src1_sel:DWORD
	s_waitcnt vmcnt(20)
	v_lshrrev_b32_e32 v11, 16, v16
	v_fma_f16 v14, v12, v34, -v35
	v_mul_f16_sdwa v34, v13, v16 dst_sel:DWORD dst_unused:UNUSED_PAD src0_sel:WORD_1 src1_sel:DWORD
	v_pack_b32_f16 v9, v33, v9
	v_fmac_f16_e32 v10, v12, v15
	v_mul_f16_sdwa v12, v13, v11 dst_sel:DWORD dst_unused:UNUSED_PAD src0_sel:WORD_1 src1_sel:DWORD
	s_waitcnt vmcnt(19)
	v_lshrrev_b32_e32 v15, 16, v17
	s_waitcnt vmcnt(18)
	v_mul_f16_sdwa v33, v18, v17 dst_sel:DWORD dst_unused:UNUSED_PAD src0_sel:WORD_1 src1_sel:DWORD
	v_fma_f16 v11, v13, v11, -v34
	v_pack_b32_f16 v10, v10, v14
	v_fmac_f16_e32 v12, v13, v16
	v_mul_f16_sdwa v13, v18, v15 dst_sel:DWORD dst_unused:UNUSED_PAD src0_sel:WORD_1 src1_sel:DWORD
	v_fma_f16 v14, v18, v15, -v33
	s_waitcnt vmcnt(13)
	v_lshrrev_b32_e32 v15, 16, v23
	v_mul_f16_sdwa v16, v19, v23 dst_sel:DWORD dst_unused:UNUSED_PAD src0_sel:WORD_1 src1_sel:DWORD
	ds_write2_b32 v45, v9, v10 offset0:39 offset1:81
	v_pack_b32_f16 v9, v12, v11
	v_fmac_f16_e32 v13, v18, v17
	v_mul_f16_sdwa v10, v19, v15 dst_sel:DWORD dst_unused:UNUSED_PAD src0_sel:WORD_1 src1_sel:DWORD
	s_waitcnt vmcnt(12)
	v_lshrrev_b32_e32 v11, 16, v24
	v_mul_f16_sdwa v12, v20, v24 dst_sel:DWORD dst_unused:UNUSED_PAD src0_sel:WORD_1 src1_sel:DWORD
	v_fma_f16 v15, v19, v15, -v16
	v_pack_b32_f16 v13, v13, v14
	v_fmac_f16_e32 v10, v19, v23
	v_mul_f16_sdwa v14, v20, v11 dst_sel:DWORD dst_unused:UNUSED_PAD src0_sel:WORD_1 src1_sel:DWORD
	v_fma_f16 v11, v20, v11, -v12
	s_waitcnt vmcnt(8)
	v_lshrrev_b32_e32 v12, 16, v28
	v_mul_f16_sdwa v16, v21, v28 dst_sel:DWORD dst_unused:UNUSED_PAD src0_sel:WORD_1 src1_sel:DWORD
	ds_write2_b32 v45, v9, v13 offset0:123 offset1:165
	v_pack_b32_f16 v9, v10, v15
	v_fmac_f16_e32 v14, v20, v24
	v_mul_f16_sdwa v10, v21, v12 dst_sel:DWORD dst_unused:UNUSED_PAD src0_sel:WORD_1 src1_sel:DWORD
	s_waitcnt vmcnt(7)
	v_lshrrev_b32_e32 v13, 16, v29
	v_mul_f16_sdwa v15, v22, v29 dst_sel:DWORD dst_unused:UNUSED_PAD src0_sel:WORD_1 src1_sel:DWORD
	v_fma_f16 v12, v21, v12, -v16
	v_pack_b32_f16 v11, v14, v11
	v_fmac_f16_e32 v10, v21, v28
	v_mul_f16_sdwa v14, v22, v13 dst_sel:DWORD dst_unused:UNUSED_PAD src0_sel:WORD_1 src1_sel:DWORD
	v_fma_f16 v13, v22, v13, -v15
	s_waitcnt vmcnt(6)
	v_lshrrev_b32_e32 v15, 16, v30
	v_mul_f16_sdwa v16, v25, v30 dst_sel:DWORD dst_unused:UNUSED_PAD src0_sel:WORD_1 src1_sel:DWORD
	v_pack_b32_f16 v10, v10, v12
	v_fmac_f16_e32 v14, v22, v29
	s_waitcnt vmcnt(5)
	v_lshrrev_b32_e32 v12, 16, v31
	v_mul_f16_sdwa v18, v26, v31 dst_sel:DWORD dst_unused:UNUSED_PAD src0_sel:WORD_1 src1_sel:DWORD
	v_mul_f16_sdwa v17, v25, v15 dst_sel:DWORD dst_unused:UNUSED_PAD src0_sel:WORD_1 src1_sel:DWORD
	v_fma_f16 v15, v25, v15, -v16
	v_pack_b32_f16 v13, v14, v13
	v_mul_f16_sdwa v14, v26, v12 dst_sel:DWORD dst_unused:UNUSED_PAD src0_sel:WORD_1 src1_sel:DWORD
	v_fma_f16 v12, v26, v12, -v18
	s_waitcnt vmcnt(4)
	v_lshrrev_b32_e32 v16, 16, v32
	v_mul_f16_sdwa v18, v27, v32 dst_sel:DWORD dst_unused:UNUSED_PAD src0_sel:WORD_1 src1_sel:DWORD
	s_waitcnt vmcnt(3)
	v_lshrrev_b32_e32 v19, 16, v7
	s_waitcnt vmcnt(2)
	v_lshrrev_b32_e32 v20, 16, v0
	s_waitcnt vmcnt(0)
	v_mul_f16_sdwa v24, v8, v0 dst_sel:DWORD dst_unused:UNUSED_PAD src0_sel:WORD_1 src1_sel:DWORD
	v_mul_f16_sdwa v21, v27, v16 dst_sel:DWORD dst_unused:UNUSED_PAD src0_sel:WORD_1 src1_sel:DWORD
	v_fma_f16 v16, v27, v16, -v18
	v_mul_f16_sdwa v18, v1, v7 dst_sel:DWORD dst_unused:UNUSED_PAD src0_sel:WORD_1 src1_sel:DWORD
	v_mul_f16_sdwa v22, v1, v19 dst_sel:DWORD dst_unused:UNUSED_PAD src0_sel:WORD_1 src1_sel:DWORD
	;; [unrolled: 1-line block ×3, first 2 shown]
	v_fmac_f16_e32 v17, v25, v30
	v_fmac_f16_e32 v14, v26, v31
	;; [unrolled: 1-line block ×3, first 2 shown]
	v_fma_f16 v18, v1, v19, -v18
	v_fmac_f16_e32 v22, v1, v7
	v_fmac_f16_e32 v23, v8, v0
	v_fma_f16 v0, v8, v20, -v24
	v_pack_b32_f16 v1, v17, v15
	v_pack_b32_f16 v7, v14, v12
	;; [unrolled: 1-line block ×5, first 2 shown]
	ds_write2_b32 v45, v9, v11 offset0:207 offset1:249
	ds_write2_b32 v3, v10, v13 offset0:35 offset1:77
	;; [unrolled: 1-line block ×4, first 2 shown]
	ds_write_b32 v45, v0 offset:2172
.LBB0_3:
	s_or_b32 exec_lo, exec_lo, s12
	s_waitcnt lgkmcnt(0)
	s_barrier
	buffer_gl0_inv
	ds_read2_b32 v[9:10], v45 offset1:42
	ds_read2_b32 v[15:16], v45 offset0:84 offset1:126
	ds_read2_b32 v[19:20], v45 offset0:168 offset1:210
	;; [unrolled: 1-line block ×5, first 2 shown]
	ds_read_b32 v33, v45 offset:2016
	v_mov_b32_e32 v2, 0
                                        ; kill: def $vgpr3 killed $sgpr0 killed $exec
                                        ; implicit-def: $vgpr8
                                        ; implicit-def: $vgpr13
                                        ; implicit-def: $vgpr24
                                        ; implicit-def: $vgpr11
                                        ; implicit-def: $vgpr26
                                        ; implicit-def: $vgpr34
	s_and_saveexec_b32 s0, vcc_lo
	s_cbranch_execz .LBB0_5
; %bb.4:
	v_add_nc_u32_e32 v11, 0x400, v45
	ds_read2_b32 v[2:3], v45 offset0:39 offset1:81
	ds_read2_b32 v[25:26], v45 offset0:123 offset1:165
	;; [unrolled: 1-line block ×6, first 2 shown]
	ds_read_b32 v34, v45 offset:2172
.LBB0_5:
	s_or_b32 exec_lo, exec_lo, s0
	s_waitcnt lgkmcnt(0)
	v_pk_add_f16 v40, v3, v34 neg_lo:[0,1] neg_hi:[0,1]
	v_pk_add_f16 v36, v34, v3
	v_pk_add_f16 v3, v3, v2
	v_pk_add_f16 v43, v25, v12 neg_lo:[0,1] neg_hi:[0,1]
	v_pk_add_f16 v35, v12, v25
	v_mov_b32_e32 v31, 0xba95
	v_mov_b32_e32 v32, 0xbbf1
	v_pk_add_f16 v25, v25, v3
	v_mov_b32_e32 v29, 0xbb7b
	v_pk_add_f16 v44, v26, v11 neg_lo:[0,1] neg_hi:[0,1]
	v_mul_f16_sdwa v66, v43, v31 dst_sel:DWORD dst_unused:UNUSED_PAD src0_sel:WORD_1 src1_sel:DWORD
	v_pk_add_f16 v69, v23, v14 neg_lo:[0,1] neg_hi:[0,1]
	v_pk_add_f16 v25, v26, v25
	v_pk_add_f16 v41, v14, v23
	v_pk_mul_f16 v74, 0x3770ba95, v43
	v_mul_f16_sdwa v27, v40, v31 dst_sel:DWORD dst_unused:UNUSED_PAD src0_sel:WORD_1 src1_sel:DWORD
	v_mul_f16_sdwa v28, v40, v32 dst_sel:DWORD dst_unused:UNUSED_PAD src0_sel:WORD_1 src1_sel:DWORD
	v_pk_add_f16 v23, v23, v25
	v_fma_f16 v62, v35, 0x388b, -v66
	v_pk_add_f16 v42, v11, v26
	v_mul_f16_sdwa v77, v44, v32 dst_sel:DWORD dst_unused:UNUSED_PAD src0_sel:WORD_1 src1_sel:DWORD
	v_mul_f16_sdwa v72, v69, v29 dst_sel:DWORD dst_unused:UNUSED_PAD src0_sel:WORD_1 src1_sel:DWORD
	v_mov_b32_e32 v3, 0xb3a8
	v_pk_mul_f16 v64, 0xb94ebbf1, v44
	v_pk_add_f16 v78, v24, v23
	v_pk_fma_f16 v23, 0x388b3b15, v35, v74 op_sel:[0,0,1] op_sel_hi:[1,1,0]
	v_fma_f16 v38, v36, 0x388b, -v27
	v_fma_f16 v39, v36, 0x2fb7, -v28
	v_mul_f16_sdwa v70, v43, v29 dst_sel:DWORD dst_unused:UNUSED_PAD src0_sel:WORD_1 src1_sel:DWORD
	v_pk_add_f16 v61, v24, v13 neg_lo:[0,1] neg_hi:[0,1]
	v_fma_f16 v26, v42, 0x2fb7, -v77
	v_fma_f16 v63, v41, 0xb5ac, -v72
	v_pk_add_f16 v37, v13, v24
	v_pk_fma_f16 v24, 0x2fb7b9fd, v42, v64 op_sel:[0,0,1] op_sel_hi:[1,1,0]
	v_alignbit_b32 v82, v62, v13, 16
	v_alignbit_b32 v83, v13, v23, 16
	v_mul_f16_sdwa v13, v43, v3 dst_sel:DWORD dst_unused:UNUSED_PAD src0_sel:WORD_1 src1_sel:DWORD
	v_mov_b32_e32 v30, 0xb94e
	v_alignbit_b32 v79, v26, v14, 16
	v_alignbit_b32 v80, v14, v24, 16
	;; [unrolled: 1-line block ×3, first 2 shown]
	v_fma_f16 v23, v35, 0xb5ac, -v70
	v_add_f16_e32 v24, v38, v2
	v_fma_f16 v26, v35, 0xbbc4, -v13
	v_add_f16_e32 v39, v39, v2
	v_mul_f16_sdwa v73, v44, v3 dst_sel:DWORD dst_unused:UNUSED_PAD src0_sel:WORD_1 src1_sel:DWORD
	v_mov_b32_e32 v38, 0x3b7b
	v_mov_b32_e32 v63, 0x394e
	v_mul_f16_sdwa v67, v61, v30 dst_sel:DWORD dst_unused:UNUSED_PAD src0_sel:WORD_1 src1_sel:DWORD
	v_add_f16_e32 v24, v23, v24
	v_add_f16_e32 v26, v26, v39
	v_fma_f16 v39, v42, 0xbbc4, -v73
	v_mul_f16_sdwa v87, v44, v38 dst_sel:DWORD dst_unused:UNUSED_PAD src0_sel:WORD_1 src1_sel:DWORD
	v_mul_f16_sdwa v88, v69, v63 dst_sel:DWORD dst_unused:UNUSED_PAD src0_sel:WORD_1 src1_sel:DWORD
	v_mov_b32_e32 v62, 0x3bf1
	v_fma_f16 v25, v37, 0xb9fd, -v67
	v_pk_mul_f16 v68, 0xbb7bb94e, v61
	v_mov_b32_e32 v23, 0x3770
	v_add_f16_e32 v24, v39, v24
	v_fma_f16 v39, v42, 0xb5ac, -v87
	v_fma_f16 v75, v41, 0xb9fd, -v88
	v_mul_f16_sdwa v90, v61, v62 dst_sel:DWORD dst_unused:UNUSED_PAD src0_sel:WORD_1 src1_sel:DWORD
	v_pk_mul_f16 v65, 0x3a95bb7b, v69
	v_pk_fma_f16 v14, 0xb9fdb5ac, v37, v68 op_sel:[0,0,1] op_sel_hi:[1,1,0]
	v_mul_f16_sdwa v89, v69, v23 dst_sel:DWORD dst_unused:UNUSED_PAD src0_sel:WORD_1 src1_sel:DWORD
	v_alignbit_b32 v84, v25, v12, 16
	v_add_f16_e32 v25, v39, v26
	v_add_f16_e32 v24, v75, v24
	v_fma_f16 v39, v37, 0x2fb7, -v90
	v_fmac_f16_e32 v28, 0x2fb7, v36
	v_pk_fma_f16 v71, 0xb5ac388b, v41, v65 op_sel:[0,0,1] op_sel_hi:[1,1,0]
	v_fma_f16 v26, v41, 0x3b15, -v89
	v_alignbit_b32 v85, v12, v14, 16
	v_add_f16_e32 v12, v39, v24
	v_pk_add_f16 v76, v7, v8 neg_lo:[0,1] neg_hi:[0,1]
	v_fmac_f16_e32 v13, 0xbbc4, v35
	v_add_f16_e32 v24, v28, v2
	v_alignbit_b32 v86, v11, v71, 16
	v_add_f16_e32 v11, v26, v25
	v_fmac_f16_e32 v27, 0x388b, v36
	v_mul_f16_sdwa v25, v61, v31 dst_sel:DWORD dst_unused:UNUSED_PAD src0_sel:WORD_1 src1_sel:DWORD
	v_pk_add_f16 v75, v8, v7
	v_mul_f16_sdwa v26, v76, v23 dst_sel:DWORD dst_unused:UNUSED_PAD src0_sel:WORD_1 src1_sel:DWORD
	v_add_f16_e32 v13, v13, v24
	v_fmac_f16_e32 v87, 0xb5ac, v42
	v_add_f16_e32 v14, v27, v2
	v_fma_f16 v24, v37, 0x388b, -v25
	v_fma_f16 v27, v75, 0x3b15, -v26
	v_mul_f16_sdwa v28, v76, v30 dst_sel:DWORD dst_unused:UNUSED_PAD src0_sel:WORD_1 src1_sel:DWORD
	v_add_f16_e32 v13, v87, v13
	v_fmac_f16_e32 v89, 0x3b15, v41
	v_fmac_f16_e32 v70, 0xb5ac, v35
	v_add_f16_e32 v24, v24, v11
	v_add_f16_e32 v11, v27, v12
	v_fma_f16 v12, v75, 0xb9fd, -v28
	v_add_f16_e32 v13, v89, v13
	v_fmac_f16_e32 v25, 0x388b, v37
	v_mul_f16_sdwa v27, v40, v29 dst_sel:DWORD dst_unused:UNUSED_PAD src0_sel:WORD_1 src1_sel:DWORD
	v_add_f16_e32 v14, v70, v14
	v_fmac_f16_e32 v73, 0xbbc4, v42
	v_add_f16_e32 v12, v12, v24
	v_mul_f16_sdwa v39, v40, v30 dst_sel:DWORD dst_unused:UNUSED_PAD src0_sel:WORD_1 src1_sel:DWORD
	v_add_f16_e32 v13, v25, v13
	v_fma_f16 v24, v36, 0xb5ac, -v27
	v_mul_f16_sdwa v25, v43, v63 dst_sel:DWORD dst_unused:UNUSED_PAD src0_sel:WORD_1 src1_sel:DWORD
	v_add_f16_e32 v14, v73, v14
	v_fmac_f16_e32 v88, 0xb9fd, v41
	v_fma_f16 v70, v36, 0xb9fd, -v39
	v_mul_f16_sdwa v71, v43, v62 dst_sel:DWORD dst_unused:UNUSED_PAD src0_sel:WORD_1 src1_sel:DWORD
	v_add_f16_e32 v24, v24, v2
	v_fma_f16 v73, v35, 0xb9fd, -v25
	v_add_f16_e32 v14, v88, v14
	v_fmac_f16_e32 v90, 0x2fb7, v37
	v_add_f16_e32 v70, v70, v2
	v_fma_f16 v87, v35, 0x2fb7, -v71
	v_mul_f16_sdwa v89, v44, v31 dst_sel:DWORD dst_unused:UNUSED_PAD src0_sel:WORD_1 src1_sel:DWORD
	v_add_f16_e32 v73, v73, v24
	v_mov_b32_e32 v24, 0x33a8
	v_add_f16_e32 v14, v90, v14
	v_add_f16_e32 v70, v87, v70
	v_fma_f16 v90, v42, 0x388b, -v89
	v_fmac_f16_e32 v27, 0xb5ac, v36
	v_mul_f16_sdwa v92, v69, v24 dst_sel:DWORD dst_unused:UNUSED_PAD src0_sel:WORD_1 src1_sel:DWORD
	v_fmac_f16_e32 v39, 0xb9fd, v36
	v_fmac_f16_e32 v25, 0xb9fd, v35
	v_add_f16_e32 v70, v90, v70
	v_add_f16_e32 v27, v27, v2
	v_fma_f16 v90, v41, 0xbbc4, -v92
	v_fmac_f16_e32 v71, 0x2fb7, v35
	v_add_f16_e32 v39, v39, v2
	v_mul_f16_sdwa v88, v44, v23 dst_sel:DWORD dst_unused:UNUSED_PAD src0_sel:WORD_1 src1_sel:DWORD
	v_add_f16_e32 v25, v25, v27
	v_add_f16_e32 v70, v90, v70
	v_pk_add_f16 v90, v9, v10
	v_add_f16_e32 v27, v71, v39
	v_fmac_f16_e32 v26, 0x3b15, v75
	v_fma_f16 v87, v42, 0x3b15, -v88
	v_mul_f16_sdwa v91, v69, v32 dst_sel:DWORD dst_unused:UNUSED_PAD src0_sel:WORD_1 src1_sel:DWORD
	v_pk_add_f16 v71, v90, v15
	v_fmac_f16_e32 v28, 0xb9fd, v75
	v_add_f16_e32 v14, v26, v14
	v_add_f16_e32 v73, v87, v73
	v_fma_f16 v87, v41, 0x2fb7, -v91
	v_pk_add_f16 v71, v71, v16
	v_mul_f16_sdwa v26, v61, v24 dst_sel:DWORD dst_unused:UNUSED_PAD src0_sel:WORD_1 src1_sel:DWORD
	v_add_f16_e32 v13, v28, v13
	v_fmac_f16_e32 v88, 0x3b15, v42
	v_add_f16_e32 v28, v87, v73
	v_pk_add_f16 v71, v71, v19
	v_fma_f16 v73, v37, 0xbbc4, -v26
	v_mul_f16_sdwa v87, v61, v23 dst_sel:DWORD dst_unused:UNUSED_PAD src0_sel:WORD_1 src1_sel:DWORD
	v_fmac_f16_e32 v89, 0x388b, v42
	v_mov_b32_e32 v39, 0x3a95
	v_pk_add_f16 v71, v71, v20
	v_add_f16_e32 v28, v73, v28
	v_fma_f16 v73, v37, 0x3b15, -v87
	v_add_f16_e32 v25, v88, v25
	v_add_f16_e32 v27, v89, v27
	v_fmac_f16_e32 v91, 0x2fb7, v41
	v_fmac_f16_e32 v92, 0xbbc4, v41
	v_pk_add_f16 v71, v71, v0
	v_add_f16_e32 v70, v73, v70
	v_mul_f16_sdwa v73, v76, v39 dst_sel:DWORD dst_unused:UNUSED_PAD src0_sel:WORD_1 src1_sel:DWORD
	v_mul_f16_sdwa v88, v76, v29 dst_sel:DWORD dst_unused:UNUSED_PAD src0_sel:WORD_1 src1_sel:DWORD
	v_add_f16_e32 v25, v91, v25
	v_add_f16_e32 v27, v92, v27
	v_fmac_f16_e32 v26, 0xbbc4, v37
	v_fmac_f16_e32 v87, 0x3b15, v37
	v_pk_add_f16 v71, v71, v1
	v_fma_f16 v89, v75, 0x388b, -v73
	v_fma_f16 v90, v75, 0xb5ac, -v88
	v_add_f16_e32 v91, v26, v25
	v_add_f16_e32 v27, v87, v27
	v_fmac_f16_e32 v73, 0x388b, v75
	v_pk_add_f16 v87, v71, v21
	v_fmac_f16_e32 v88, 0xb5ac, v75
	v_add_f16_e32 v25, v89, v28
	v_add_f16_e32 v26, v90, v70
	;; [unrolled: 1-line block ×3, first 2 shown]
	v_pk_add_f16 v73, v22, v19
	v_pk_add_f16 v70, v19, v22 neg_lo:[0,1] neg_hi:[0,1]
	v_pk_add_f16 v71, v21, v20
	v_pk_add_f16 v19, v20, v21 neg_lo:[0,1] neg_hi:[0,1]
	v_pk_add_f16 v20, v87, v22
	v_pk_add_f16 v22, v33, v10
	v_pk_add_f16 v87, v10, v33 neg_lo:[0,1] neg_hi:[0,1]
	v_add_f16_e32 v27, v88, v27
	v_pk_add_f16 v21, v18, v15
	v_pk_add_f16 v88, v20, v17
	v_lshrrev_b32_e32 v89, 16, v22
	v_mul_f16_e32 v90, 0xba95, v87
	v_pk_add_f16 v15, v15, v18 neg_lo:[0,1] neg_hi:[0,1]
	v_pk_add_f16 v20, v17, v16
	v_pk_add_f16 v10, v16, v17 neg_lo:[0,1] neg_hi:[0,1]
	v_pk_add_f16 v18, v88, v18
	v_mul_f16_e32 v16, 0xbbf1, v87
	v_fmamk_f16 v17, v89, 0x388b, v90
	v_fma_f16 v88, v89, 0x388b, -v90
	v_mul_f16_e32 v90, 0xbb7b, v87
	v_mov_b32_e32 v91, 0xb770
	v_mul_f16_e32 v93, 0xb94e, v87
	v_pk_mul_f16 v99, 0x3b15388b, v22
	v_pk_mul_f16 v104, 0xbbc4, v22 op_sel_hi:[0,1]
	v_fmamk_f16 v92, v89, 0x2fb7, v16
	v_fma_f16 v16, v89, 0x2fb7, -v16
	v_fmamk_f16 v94, v89, 0xb5ac, v90
	v_mul_f16_sdwa v95, v87, v91 dst_sel:DWORD dst_unused:UNUSED_PAD src0_sel:WORD_1 src1_sel:DWORD
	v_fma_f16 v90, v89, 0xb5ac, -v90
	v_fmamk_f16 v96, v89, 0xb9fd, v93
	v_fma_f16 v89, v89, 0xb9fd, -v93
	v_mul_f16_sdwa v93, v87, v32 dst_sel:DWORD dst_unused:UNUSED_PAD src0_sel:WORD_1 src1_sel:DWORD
	v_mul_f16_sdwa v98, v87, v29 dst_sel:DWORD dst_unused:UNUSED_PAD src0_sel:WORD_1 src1_sel:DWORD
	;; [unrolled: 1-line block ×3, first 2 shown]
	v_pk_fma_f16 v103, 0xba95b770, v87, v99 op_sel:[0,0,1] op_sel_hi:[1,1,0] neg_lo:[0,1,0] neg_hi:[0,1,0]
	v_pk_fma_f16 v99, 0xba95b770, v87, v99 op_sel:[0,0,1] op_sel_hi:[1,1,0]
	v_pk_fma_f16 v106, 0xb3a8, v87, v104 op_sel:[0,0,1] op_sel_hi:[0,1,0] neg_lo:[0,1,0] neg_hi:[0,1,0]
	v_fma_f16 v97, v22, 0x3b15, -v95
	v_fmac_f16_e32 v95, 0x3b15, v22
	v_fma_f16 v100, v22, 0x2fb7, -v93
	v_fmac_f16_e32 v93, 0x2fb7, v22
	;; [unrolled: 2-line block ×4, first 2 shown]
	v_bfi_b32 v22, 0xffff, v99, v103
	v_pk_fma_f16 v87, 0xb3a8, v87, v104 op_sel:[0,0,1] op_sel_hi:[0,1,0]
	v_add_f16_sdwa v104, v9, v17 dst_sel:DWORD dst_unused:UNUSED_PAD src0_sel:WORD_1 src1_sel:DWORD
	v_add_f16_sdwa v107, v9, v16 dst_sel:DWORD dst_unused:UNUSED_PAD src0_sel:WORD_1 src1_sel:DWORD
	v_lshrrev_b32_e32 v108, 16, v36
	v_mul_f16_e32 v109, 0xba95, v40
	v_add_f16_sdwa v17, v9, v103 dst_sel:DWORD dst_unused:UNUSED_PAD src0_sel:WORD_1 src1_sel:DWORD
	v_pk_add_f16 v16, v9, v106 op_sel:[1,0] op_sel_hi:[0,1]
	v_mul_f16_e32 v103, 0xbbf1, v40
	v_mul_f16_e32 v106, 0xbb7b, v40
	;; [unrolled: 1-line block ×4, first 2 shown]
	v_mul_f16_sdwa v91, v40, v91 dst_sel:DWORD dst_unused:UNUSED_PAD src0_sel:WORD_1 src1_sel:DWORD
	v_add_f16_e32 v97, v9, v97
	v_add_f16_e32 v95, v9, v95
	v_pk_add_f16 v22, v9, v22 op_sel:[1,0] op_sel_hi:[0,1]
	v_pk_add_f16 v99, v9, v99 op_sel:[1,0] op_sel_hi:[0,1]
	v_add_f16_sdwa v88, v9, v88 dst_sel:DWORD dst_unused:UNUSED_PAD src0_sel:WORD_1 src1_sel:DWORD
	v_add_f16_e32 v100, v9, v100
	v_add_f16_sdwa v92, v9, v92 dst_sel:DWORD dst_unused:UNUSED_PAD src0_sel:WORD_1 src1_sel:DWORD
	v_add_f16_e32 v93, v9, v93
	v_add_f16_e32 v101, v9, v101
	v_add_f16_sdwa v94, v9, v94 dst_sel:DWORD dst_unused:UNUSED_PAD src0_sel:WORD_1 src1_sel:DWORD
	v_add_f16_e32 v98, v9, v98
	v_add_f16_sdwa v90, v9, v90 dst_sel:DWORD dst_unused:UNUSED_PAD src0_sel:WORD_1 src1_sel:DWORD
	;; [unrolled: 2-line block ×4, first 2 shown]
	v_pk_add_f16 v9, v9, v87 op_sel:[1,0] op_sel_hi:[0,1]
	v_fmamk_f16 v87, v108, 0x388b, v109
	v_fma_f16 v109, v108, 0x388b, -v109
	v_fmamk_f16 v110, v108, 0x2fb7, v103
	v_fma_f16 v103, v108, 0x2fb7, -v103
	;; [unrolled: 2-line block ×4, first 2 shown]
	v_fmamk_f16 v115, v108, 0xbbc4, v113
	v_fmamk_f16 v116, v36, 0x3b15, v91
	v_fma_f16 v108, v108, 0xbbc4, -v113
	v_lshrrev_b32_e32 v113, 16, v35
	v_mul_f16_e32 v117, 0xbb7b, v43
	v_fmac_f16_e32 v66, 0x388b, v35
	v_add_f16_e32 v116, v116, v2
	v_add_f16_sdwa v87, v87, v2 dst_sel:DWORD dst_unused:UNUSED_PAD src0_sel:DWORD src1_sel:WORD_1
	v_mul_f16_e32 v118, 0xb3a8, v43
	v_fmamk_f16 v119, v113, 0xb5ac, v117
	v_fma_f16 v117, v113, 0xb5ac, -v117
	v_add_f16_sdwa v109, v109, v2 dst_sel:DWORD dst_unused:UNUSED_PAD src0_sel:DWORD src1_sel:WORD_1
	v_add_f16_sdwa v110, v110, v2 dst_sel:DWORD dst_unused:UNUSED_PAD src0_sel:DWORD src1_sel:WORD_1
	v_fmamk_f16 v120, v113, 0xbbc4, v118
	v_add_f16_e32 v66, v66, v116
	v_add_f16_e32 v87, v119, v87
	;; [unrolled: 1-line block ×3, first 2 shown]
	v_mul_f16_e32 v116, 0x394e, v43
	v_fma_f16 v117, v113, 0xbbc4, -v118
	v_add_f16_sdwa v103, v103, v2 dst_sel:DWORD dst_unused:UNUSED_PAD src0_sel:DWORD src1_sel:WORD_1
	v_mul_f16_e32 v119, 0x3bf1, v43
	v_pk_mul_f16 v40, 0xb3a8b770, v40
	v_add_f16_e32 v110, v120, v110
	v_add_f16_sdwa v112, v112, v2 dst_sel:DWORD dst_unused:UNUSED_PAD src0_sel:DWORD src1_sel:WORD_1
	v_fmamk_f16 v118, v113, 0xb9fd, v116
	v_fma_f16 v116, v113, 0xb9fd, -v116
	v_add_f16_sdwa v106, v106, v2 dst_sel:DWORD dst_unused:UNUSED_PAD src0_sel:DWORD src1_sel:WORD_1
	v_add_f16_sdwa v114, v114, v2 dst_sel:DWORD dst_unused:UNUSED_PAD src0_sel:DWORD src1_sel:WORD_1
	v_fmamk_f16 v120, v113, 0x2fb7, v119
	v_add_f16_e32 v103, v117, v103
	v_pk_fma_f16 v117, 0x3b15bbc4, v36, v40 op_sel:[0,0,1] op_sel_hi:[1,1,0] neg_lo:[0,0,1] neg_hi:[0,0,1]
	v_add_f16_e32 v112, v118, v112
	v_add_f16_e32 v106, v116, v106
	;; [unrolled: 1-line block ×3, first 2 shown]
	v_fma_f16 v116, v113, 0x2fb7, -v119
	v_add_f16_sdwa v111, v111, v2 dst_sel:DWORD dst_unused:UNUSED_PAD src0_sel:DWORD src1_sel:WORD_1
	v_pk_add_f16 v117, v117, v2
	v_pk_fma_f16 v118, 0x388b3b15, v35, v74 op_sel:[0,0,1] op_sel_hi:[1,1,0] neg_lo:[0,0,1] neg_hi:[0,0,1]
	v_lshrrev_b32_e32 v119, 16, v42
	v_mul_f16_e32 v120, 0xb3a8, v44
	v_mul_f16_e32 v43, 0x3770, v43
	v_add_f16_e32 v111, v116, v111
	v_fmac_f16_e32 v77, 0x2fb7, v42
	v_pk_add_f16 v116, v118, v117
	v_fmamk_f16 v117, v119, 0xbbc4, v120
	v_fma_f16 v118, v119, 0xbbc4, -v120
	v_add_f16_sdwa v108, v108, v2 dst_sel:DWORD dst_unused:UNUSED_PAD src0_sel:DWORD src1_sel:WORD_1
	v_fma_f16 v121, v113, 0x3b15, -v43
	v_add_f16_e32 v66, v77, v66
	v_mul_f16_e32 v77, 0x3b7b, v44
	v_add_f16_e32 v87, v117, v87
	v_mul_f16_e32 v117, 0x3770, v44
	v_add_f16_e32 v109, v118, v109
	v_mul_f16_e32 v118, 0xba95, v44
	v_add_f16_e32 v108, v121, v108
	v_fmamk_f16 v120, v119, 0xb5ac, v77
	v_fma_f16 v77, v119, 0xb5ac, -v77
	v_fmamk_f16 v121, v119, 0x3b15, v117
	v_fma_f16 v117, v119, 0x3b15, -v117
	v_fmamk_f16 v122, v119, 0x388b, v118
	v_add_f16_e32 v110, v120, v110
	v_add_f16_e32 v77, v77, v103
	;; [unrolled: 1-line block ×5, first 2 shown]
	v_fma_f16 v114, v119, 0x388b, -v118
	v_mul_f16_e32 v44, 0xb94e, v44
	v_pk_fma_f16 v117, 0x2fb7b9fd, v42, v64 op_sel:[0,0,1] op_sel_hi:[1,1,0] neg_lo:[0,0,1] neg_hi:[0,0,1]
	v_lshrrev_b32_e32 v118, 16, v41
	v_mul_f16_e32 v120, 0x394e, v69
	v_add_f16_e32 v111, v114, v111
	v_fma_f16 v114, v119, 0xb9fd, -v44
	v_pk_add_f16 v116, v117, v116
	v_fmac_f16_e32 v72, 0xb5ac, v41
	v_fmamk_f16 v117, v118, 0xb9fd, v120
	v_fma_f16 v120, v118, 0xb9fd, -v120
	v_add_f16_e32 v108, v114, v108
	v_mul_f16_e32 v114, 0x3770, v69
	v_add_f16_e32 v66, v72, v66
	v_add_f16_e32 v72, v117, v87
	;; [unrolled: 1-line block ×3, first 2 shown]
	v_mov_b32_e32 v109, 0x3b15
	v_fmamk_f16 v117, v118, 0x3b15, v114
	v_fma_f16 v114, v118, 0x3b15, -v114
	v_alignbit_b32 v120, s0, v78, 16
	v_alignbit_b32 v121, s0, v7, 16
	v_mul_f16_sdwa v109, v36, v109 dst_sel:WORD_1 dst_unused:UNUSED_PAD src0_sel:DWORD src1_sel:DWORD
	v_alignbit_b32 v91, v91, v7, 16
	v_mul_f16_e32 v113, 0x3b15, v113
	v_add_f16_e32 v77, v114, v77
	v_pk_add_f16 v114, v120, v121
	v_add_f16_e32 v110, v117, v110
	v_pk_add_f16 v91, v109, v91 neg_lo:[0,1] neg_hi:[0,1]
	v_perm_b32 v109, v2, v113, 0x5040100
	v_pk_mul_f16 v113, 0x3b15bbc4, v36
	v_alignbit_b32 v117, v2, v8, 16
	v_perm_b32 v7, v7, v40, 0x5040100
	v_perm_b32 v74, v74, v2, 0x7060302
	v_alignbit_b32 v2, v8, v2, 16
	v_alignbit_b32 v78, v78, v113, 16
	v_pk_fma_f16 v113, 0x3b15bbc4, v36, v40 op_sel:[0,0,1] op_sel_hi:[1,1,0]
	v_bfi_b32 v40, 0xffff, v114, v91
	v_mul_f16_e32 v8, 0xbbf1, v69
	v_fmac_f16_e32 v67, 0xb9fd, v37
	v_pk_add_f16 v7, v7, v78
	v_mul_f16_e32 v36, 0x33a8, v69
	v_pk_add_f16 v40, v117, v40
	v_fmamk_f16 v91, v118, 0x2fb7, v8
	v_fma_f16 v8, v118, 0x2fb7, -v8
	v_pk_add_f16 v2, v7, v2
	v_add_f16_e32 v66, v67, v66
	v_pk_add_f16 v40, v82, v40
	v_mul_f16_e32 v67, 0xba95, v61
	v_fmamk_f16 v78, v118, 0xbbc4, v36
	v_pk_add_f16 v2, v83, v2
	v_add_f16_e32 v91, v91, v103
	v_pk_add_f16 v40, v79, v40
	v_add_f16_e32 v7, v8, v106
	v_fma_f16 v36, v118, 0xbbc4, -v36
	v_pk_add_f16 v2, v80, v2
	v_lshrrev_b32_e32 v80, 16, v37
	v_pk_add_f16 v40, v81, v40
	v_mul_f16_e32 v81, 0x3bf1, v61
	v_mul_f16_e32 v83, 0x3770, v61
	v_pk_add_f16 v2, v86, v2
	v_add_f16_e32 v8, v78, v112
	v_pk_add_f16 v40, v84, v40
	v_fmamk_f16 v82, v80, 0x2fb7, v81
	v_fma_f16 v81, v80, 0x2fb7, -v81
	v_pk_add_f16 v2, v85, v2
	v_fmamk_f16 v84, v80, 0x388b, v67
	v_fma_f16 v67, v80, 0x388b, -v67
	v_add_f16_e32 v72, v82, v72
	v_mul_f16_e32 v82, 0x33a8, v61
	v_pk_fma_f16 v78, 0xb5ac388b, v41, v65 op_sel:[0,0,1] op_sel_hi:[1,1,0] neg_lo:[0,0,1] neg_hi:[0,0,1]
	v_add_f16_e32 v36, v36, v111
	v_add_f16_e32 v81, v81, v87
	;; [unrolled: 1-line block ×3, first 2 shown]
	v_fmamk_f16 v85, v80, 0xbbc4, v82
	v_fma_f16 v82, v80, 0xbbc4, -v82
	v_mul_f16_sdwa v77, v76, v3 dst_sel:DWORD dst_unused:UNUSED_PAD src0_sel:WORD_1 src1_sel:DWORD
	v_pk_add_f16 v78, v78, v116
	v_fmamk_f16 v86, v80, 0x3b15, v83
	v_add_f16_e32 v87, v85, v91
	v_add_f16_e32 v7, v82, v7
	v_fma_f16 v82, v80, 0x3b15, -v83
	v_pk_mul_f16 v91, 0x3bf1b3a8, v76
	v_pk_fma_f16 v83, 0xb9fdb5ac, v37, v68 op_sel:[0,0,1] op_sel_hi:[1,1,0] neg_lo:[0,0,1] neg_hi:[0,0,1]
	v_fma_f16 v85, v75, 0xbbc4, -v77
	v_mul_f16_e32 v69, 0x3a95, v69
	v_add_f16_e32 v82, v82, v36
	v_pk_fma_f16 v36, 0xbbc42fb7, v75, v91 op_sel:[0,0,1] op_sel_hi:[1,1,0]
	v_pk_add_f16 v103, v83, v78
	v_alignbit_b32 v83, v85, v34, 16
	v_fma_f16 v79, v118, 0x388b, -v69
	v_mul_f16_e32 v61, 0xbb7b, v61
	v_alignbit_b32 v34, v34, v36, 16
	v_lshrrev_b32_e32 v106, 16, v75
	v_pk_add_f16 v36, v83, v40
	v_add_f16_e32 v79, v79, v108
	v_fma_f16 v78, v80, 0xb5ac, -v61
	v_pk_add_f16 v40, v34, v2
	v_pk_mul_f16 v2, 0x388b3b15, v35
	v_mul_f16_e32 v85, 0x3770, v76
	v_pack_b32_f16 v35, v43, v113
	v_pk_mul_f16 v42, 0x2fb7b9fd, v42
	v_mul_f16_e32 v43, 0xb9fd, v119
	v_pack_b32_f16 v2, v115, v2
	v_add_f16_e32 v108, v78, v79
	v_fmamk_f16 v78, v106, 0x3b15, v85
	v_fma_f16 v34, v106, 0x3b15, -v85
	v_pk_add_f16 v35, v35, v109
	v_pk_add_f16 v2, v2, v74
	v_pack_b32_f16 v42, v44, v42
	v_bfi_b32 v43, 0xffff, v43, v64
	v_fmac_f16_e32 v77, 0xbbc4, v75
	v_add_f16_e32 v83, v78, v72
	v_add_f16_e32 v78, v34, v81
	v_mul_f16_e32 v34, 0xb94e, v76
	v_pk_mul_f16 v41, 0xb5ac388b, v41
	v_mul_f16_e32 v44, 0x388b, v118
	v_pk_add_f16 v2, v2, v35
	v_pk_add_f16 v35, v42, v43
	v_add_f16_e32 v84, v84, v110
	v_add_f16_e32 v77, v77, v66
	v_fmamk_f16 v66, v106, 0xb9fd, v34
	v_pack_b32_f16 v41, v69, v41
	v_bfi_b32 v42, 0xffff, v44, v65
	v_fma_f16 v34, v106, 0xb9fd, -v34
	v_pk_add_f16 v2, v35, v2
	v_pk_mul_f16 v35, 0xb9fdb5ac, v37
	v_mul_f16_e32 v37, 0xb5ac, v80
	v_add_f16_e32 v85, v66, v84
	v_mul_f16_e32 v43, 0x3a95, v76
	v_pk_add_f16 v41, v41, v42
	v_add_f16_e32 v84, v34, v67
	v_pack_b32_f16 v34, v61, v35
	v_bfi_b32 v35, 0xffff, v37, v68
	v_fmamk_f16 v44, v106, 0x388b, v43
	v_pk_add_f16 v2, v41, v2
	v_fma_f16 v37, v106, 0x388b, -v43
	v_mul_f16_e32 v41, 0x2fb7, v106
	v_pk_mul_f16 v42, 0xbbc42fb7, v75
	v_mul_f16_e32 v43, 0x3bf1, v76
	v_pk_add_f16 v34, v34, v35
	v_mul_f16_e32 v35, 0xbb7b, v76
	v_add_f16_e32 v8, v86, v8
	v_add_f16_e32 v86, v44, v87
	;; [unrolled: 1-line block ×3, first 2 shown]
	v_bfi_b32 v7, 0xffff, v41, v91
	v_pack_b32_f16 v37, v43, v42
	v_pk_add_f16 v2, v34, v2
	v_fmamk_f16 v34, v106, 0xb5ac, v35
	v_fma_f16 v35, v106, 0xb5ac, -v35
	v_pk_fma_f16 v41, 0xbbc42fb7, v75, v91 op_sel:[0,0,1] op_sel_hi:[1,1,0] neg_lo:[0,0,1] neg_hi:[0,0,1]
	v_pk_add_f16 v7, v37, v7
	v_fma_f16 v37, v106, 0x2fb7, -v43
	v_add_f16_e32 v79, v34, v8
	v_pk_mul_f16 v34, 0x388bb5ac, v21
	v_add_f16_e32 v82, v35, v82
	v_pk_add_f16 v80, v7, v2
	v_add_f16_e32 v81, v37, v108
	v_lshrrev_b32_e32 v35, 16, v21
	v_pk_fma_f16 v7, 0xbb7bba95, v15, v34 op_sel:[0,0,1] op_sel_hi:[1,1,0] neg_lo:[0,1,0] neg_hi:[0,1,0]
	v_pk_fma_f16 v34, 0xbb7bba95, v15, v34 op_sel:[0,0,1] op_sel_hi:[1,1,0]
	v_mul_f16_e32 v37, 0xbb7b, v15
	v_mul_f16_sdwa v8, v15, v31 dst_sel:DWORD dst_unused:UNUSED_PAD src0_sel:WORD_1 src1_sel:DWORD
	v_pk_add_f16 v43, v41, v103
	v_pk_add_f16 v18, v18, v33
	v_bfi_b32 v33, 0xffff, v34, v7
	v_fmamk_f16 v41, v35, 0xb5ac, v37
	v_fma_f16 v2, v21, 0x388b, -v8
	v_mul_f16_e32 v65, 0x394e, v15
	v_mul_f16_e32 v67, 0x3bf1, v15
	v_pk_add_f16 v22, v33, v22
	v_fma_f16 v33, v35, 0xb5ac, -v37
	v_add_f16_e32 v37, v41, v104
	v_mul_f16_e32 v41, 0xb3a8, v15
	v_mul_f16_sdwa v72, v10, v32 dst_sel:DWORD dst_unused:UNUSED_PAD src0_sel:WORD_1 src1_sel:DWORD
	v_fmac_f16_e32 v8, 0x388b, v21
	v_add_f16_e32 v2, v2, v97
	v_add_f16_e32 v33, v33, v88
	v_mul_f16_sdwa v61, v15, v63 dst_sel:DWORD dst_unused:UNUSED_PAD src0_sel:WORD_1 src1_sel:DWORD
	v_fmamk_f16 v63, v35, 0xbbc4, v41
	v_fma_f16 v41, v35, 0xbbc4, -v41
	v_fmamk_f16 v66, v35, 0xb9fd, v65
	v_fma_f16 v65, v35, 0xb9fd, -v65
	;; [unrolled: 2-line block ×3, first 2 shown]
	v_fma_f16 v67, v20, 0x2fb7, -v72
	v_lshrrev_b32_e32 v76, 16, v20
	v_mul_f16_e32 v88, 0xb3a8, v10
	v_add_f16_e32 v8, v8, v95
	v_mul_f16_sdwa v42, v15, v3 dst_sel:DWORD dst_unused:UNUSED_PAD src0_sel:WORD_1 src1_sel:DWORD
	v_pk_mul_f16 v74, 0x2fb7bbc4, v20
	v_fmac_f16_e32 v72, 0x2fb7, v20
	v_add_f16_e32 v2, v67, v2
	v_fmamk_f16 v67, v76, 0xbbc4, v88
	v_fma_f16 v44, v21, 0xbbc4, -v42
	v_pk_add_f16 v34, v34, v99
	v_pk_fma_f16 v75, 0xb3a8bbf1, v10, v74 op_sel:[0,0,1] op_sel_hi:[1,1,0] neg_lo:[0,1,0] neg_hi:[0,1,0]
	v_pk_fma_f16 v74, 0xb3a8bbf1, v10, v74 op_sel:[0,0,1] op_sel_hi:[1,1,0]
	v_add_f16_e32 v8, v72, v8
	v_mul_f16_sdwa v38, v10, v38 dst_sel:DWORD dst_unused:UNUSED_PAD src0_sel:WORD_1 src1_sel:DWORD
	v_fma_f16 v72, v76, 0xbbc4, -v88
	v_add_f16_e32 v37, v67, v37
	v_mul_f16_e32 v67, 0x3b7b, v10
	v_add_f16_e32 v44, v44, v100
	v_fmac_f16_e32 v42, 0xbbc4, v21
	v_fma_f16 v64, v21, 0xb9fd, -v61
	v_add_f16_e32 v63, v63, v92
	v_add_f16_e32 v35, v35, v89
	v_bfi_b32 v89, 0xffff, v74, v75
	v_fma_f16 v88, v20, 0xb5ac, -v38
	v_pk_add_f16 v34, v74, v34
	v_add_f16_e32 v33, v72, v33
	v_mul_f16_sdwa v72, v10, v23 dst_sel:DWORD dst_unused:UNUSED_PAD src0_sel:WORD_1 src1_sel:DWORD
	v_fmamk_f16 v74, v76, 0xb5ac, v67
	v_add_f16_e32 v42, v42, v93
	v_add_f16_e32 v41, v41, v107
	;; [unrolled: 1-line block ×3, first 2 shown]
	v_mul_f16_sdwa v62, v15, v62 dst_sel:DWORD dst_unused:UNUSED_PAD src0_sel:WORD_1 src1_sel:DWORD
	v_fmac_f16_e32 v61, 0xb9fd, v21
	v_add_f16_e32 v44, v88, v44
	v_fmac_f16_e32 v38, 0xb5ac, v20
	v_fma_f16 v67, v76, 0xb5ac, -v67
	v_fma_f16 v88, v20, 0x3b15, -v72
	v_add_f16_e32 v63, v74, v63
	v_mul_f16_e32 v74, 0x3770, v10
	v_fma_f16 v68, v21, 0x2fb7, -v62
	v_add_f16_e32 v66, v66, v94
	v_add_f16_e32 v61, v61, v98
	v_add_f16_e32 v65, v65, v90
	v_fmac_f16_e32 v62, 0x2fb7, v21
	v_add_f16_e32 v38, v38, v42
	v_add_f16_e32 v41, v67, v41
	;; [unrolled: 1-line block ×3, first 2 shown]
	v_mul_f16_sdwa v64, v10, v31 dst_sel:DWORD dst_unused:UNUSED_PAD src0_sel:WORD_1 src1_sel:DWORD
	v_fmamk_f16 v67, v76, 0x3b15, v74
	v_fmac_f16_e32 v72, 0x3b15, v20
	v_fma_f16 v74, v76, 0x3b15, -v74
	v_mul_f16_e32 v88, 0xba95, v10
	v_add_f16_e32 v68, v68, v105
	v_add_f16_e32 v69, v69, v96
	;; [unrolled: 1-line block ×3, first 2 shown]
	v_pk_add_f16 v22, v89, v22
	v_fma_f16 v89, v20, 0x388b, -v64
	v_add_f16_e32 v66, v67, v66
	v_add_f16_e32 v61, v72, v61
	;; [unrolled: 1-line block ×3, first 2 shown]
	v_fmamk_f16 v67, v76, 0x388b, v88
	v_fmac_f16_e32 v64, 0x388b, v20
	v_mul_f16_sdwa v72, v70, v29 dst_sel:DWORD dst_unused:UNUSED_PAD src0_sel:WORD_1 src1_sel:DWORD
	v_pk_mul_f16 v74, 0xb5acb9fd, v73
	v_add_f16_e32 v68, v89, v68
	v_add_f16_e32 v67, v67, v69
	v_fma_f16 v69, v76, 0x388b, -v88
	v_add_f16_e32 v62, v64, v62
	v_fma_f16 v64, v73, 0xb5ac, -v72
	v_pk_fma_f16 v76, 0x394ebb7b, v70, v74 op_sel:[0,0,1] op_sel_hi:[1,1,0] neg_lo:[0,1,0] neg_hi:[0,1,0]
	v_pk_fma_f16 v74, 0x394ebb7b, v70, v74 op_sel:[0,0,1] op_sel_hi:[1,1,0]
	v_lshrrev_b32_e32 v88, 16, v73
	v_mul_f16_e32 v89, 0x394e, v70
	v_add_f16_e32 v35, v69, v35
	v_add_f16_e32 v2, v64, v2
	v_bfi_b32 v69, 0xffff, v74, v76
	v_mul_f16_sdwa v32, v70, v32 dst_sel:DWORD dst_unused:UNUSED_PAD src0_sel:WORD_1 src1_sel:DWORD
	v_fmamk_f16 v64, v88, 0xb9fd, v89
	v_fmac_f16_e32 v72, 0xb5ac, v73
	v_pk_add_f16 v34, v74, v34
	v_pk_add_f16 v22, v69, v22
	v_fma_f16 v69, v88, 0xb9fd, -v89
	v_add_f16_e32 v37, v64, v37
	v_mul_f16_e32 v64, 0x3770, v70
	v_fma_f16 v74, v73, 0x2fb7, -v32
	v_add_f16_e32 v8, v72, v8
	v_mul_f16_sdwa v72, v70, v23 dst_sel:DWORD dst_unused:UNUSED_PAD src0_sel:WORD_1 src1_sel:DWORD
	v_add_f16_e32 v33, v69, v33
	v_fmamk_f16 v69, v88, 0x3b15, v64
	v_fma_f16 v64, v88, 0x3b15, -v64
	v_add_f16_e32 v42, v74, v42
	v_fmac_f16_e32 v32, 0x2fb7, v73
	v_mul_f16_e32 v74, 0x33a8, v70
	v_fma_f16 v89, v73, 0x3b15, -v72
	v_fmac_f16_e32 v72, 0x3b15, v73
	v_add_f16_e32 v63, v69, v63
	v_mul_f16_e32 v69, 0xbbf1, v70
	v_add_f16_e32 v41, v64, v41
	v_mul_f16_sdwa v64, v70, v24 dst_sel:DWORD dst_unused:UNUSED_PAD src0_sel:WORD_1 src1_sel:DWORD
	v_add_f16_e32 v32, v32, v61
	v_fmamk_f16 v61, v88, 0xbbc4, v74
	v_add_f16_e32 v44, v89, v44
	v_add_f16_e32 v38, v72, v38
	v_fmamk_f16 v72, v88, 0x2fb7, v69
	v_fma_f16 v89, v73, 0xbbc4, -v64
	v_add_f16_e32 v61, v61, v67
	v_mul_f16_sdwa v67, v19, v30 dst_sel:DWORD dst_unused:UNUSED_PAD src0_sel:WORD_1 src1_sel:DWORD
	v_fma_f16 v69, v88, 0x2fb7, -v69
	v_add_f16_e32 v66, v72, v66
	v_add_f16_e32 v68, v89, v68
	v_fma_f16 v72, v88, 0xbbc4, -v74
	v_fma_f16 v74, v71, 0xb9fd, -v67
	v_fmac_f16_e32 v67, 0xb9fd, v71
	v_lshrrev_b32_e32 v88, 16, v71
	v_mul_f16_e32 v89, 0x3bf1, v19
	v_mul_f16_sdwa v31, v19, v31 dst_sel:DWORD dst_unused:UNUSED_PAD src0_sel:WORD_1 src1_sel:DWORD
	v_add_f16_e32 v35, v72, v35
	v_add_f16_e32 v8, v67, v8
	v_add_f16_e32 v2, v74, v2
	v_fmamk_f16 v67, v88, 0x2fb7, v89
	v_fma_f16 v72, v88, 0x2fb7, -v89
	v_mul_f16_e32 v74, 0xba95, v19
	v_mul_f16_sdwa v24, v19, v24 dst_sel:DWORD dst_unused:UNUSED_PAD src0_sel:WORD_1 src1_sel:DWORD
	v_add_f16_e32 v7, v7, v17
	v_add_f16_e32 v37, v67, v37
	v_fma_f16 v67, v71, 0x388b, -v31
	v_add_f16_e32 v33, v72, v33
	v_fmamk_f16 v72, v88, 0x388b, v74
	v_fmac_f16_e32 v31, 0x388b, v71
	v_fma_f16 v89, v71, 0xbbc4, -v24
	v_add_f16_e32 v44, v67, v44
	v_mul_f16_e32 v67, 0x33a8, v19
	v_add_f16_e32 v63, v72, v63
	v_add_f16_e32 v31, v31, v38
	;; [unrolled: 1-line block ×3, first 2 shown]
	v_mul_f16_e32 v72, 0x3770, v19
	v_fmamk_f16 v42, v88, 0xbbc4, v67
	v_add_f16_e32 v65, v69, v65
	v_fmac_f16_e32 v64, 0xbbc4, v73
	v_pk_mul_f16 v69, 0xb9fd2fb7, v71
	v_mul_f16_sdwa v23, v19, v23 dst_sel:DWORD dst_unused:UNUSED_PAD src0_sel:WORD_1 src1_sel:DWORD
	v_add_f16_e32 v42, v42, v66
	v_fmamk_f16 v66, v88, 0x3b15, v72
	v_add_f16_e32 v62, v64, v62
	v_pk_fma_f16 v64, 0x3bf1b94e, v19, v69 op_sel:[0,0,1] op_sel_hi:[1,1,0] neg_lo:[0,1,0] neg_hi:[0,1,0]
	v_pk_fma_f16 v69, 0x3bf1b94e, v19, v69 op_sel:[0,0,1] op_sel_hi:[1,1,0]
	v_fmac_f16_e32 v24, 0xbbc4, v71
	v_add_f16_e32 v17, v66, v61
	v_pk_add_f16 v61, v1, v0
	v_pk_add_f16 v1, v0, v1 neg_lo:[0,1] neg_hi:[0,1]
	v_add_f16_e32 v0, v75, v7
	v_fma_f16 v67, v88, 0xbbc4, -v67
	v_fma_f16 v89, v71, 0x3b15, -v23
	v_fmac_f16_e32 v23, 0x3b15, v71
	v_pk_mul_f16 v7, 0xbbc43b15, v61
	v_add_f16_e32 v0, v76, v0
	v_bfi_b32 v90, 0xffff, v69, v64
	v_add_f16_e32 v24, v24, v32
	v_add_f16_e32 v32, v67, v65
	;; [unrolled: 1-line block ×3, first 2 shown]
	v_fma_f16 v66, v88, 0x388b, -v74
	v_fma_f16 v67, v88, 0x3b15, -v72
	v_add_f16_e32 v23, v23, v62
	v_pk_fma_f16 v62, 0x3770b3a8, v1, v7 op_sel:[0,0,1] op_sel_hi:[1,1,0] neg_lo:[0,1,0] neg_hi:[0,1,0]
	v_pk_fma_f16 v68, 0x3770b3a8, v1, v7 op_sel:[0,0,1] op_sel_hi:[1,1,0]
	v_add_f16_e32 v0, v64, v0
	v_lshrrev_b32_e32 v64, 16, v61
	v_mul_f16_e32 v74, 0x3770, v1
	v_pk_add_f16 v22, v90, v22
	v_mul_f16_sdwa v3, v1, v3 dst_sel:DWORD dst_unused:UNUSED_PAD src0_sel:WORD_1 src1_sel:DWORD
	v_bfi_b32 v68, 0xffff, v68, v62
	v_add_f16_e32 v67, v67, v35
	v_add_f16_e32 v35, v62, v0
	v_fmamk_f16 v0, v64, 0x3b15, v74
	v_fma_f16 v72, v61, 0xbbc4, -v3
	v_pk_add_f16 v22, v68, v22
	v_fma_f16 v62, v64, 0x3b15, -v74
	v_mul_f16_sdwa v30, v1, v30 dst_sel:DWORD dst_unused:UNUSED_PAD src0_sel:WORD_1 src1_sel:DWORD
	v_mul_f16_e32 v68, 0xb9fd, v64
	v_add_f16_e32 v0, v0, v37
	v_mul_f16_sdwa v37, v1, v39 dst_sel:DWORD dst_unused:UNUSED_PAD src0_sel:WORD_1 src1_sel:DWORD
	v_add_f16_e32 v2, v72, v2
	v_add_f16_e32 v33, v62, v33
	v_fma_f16 v39, v61, 0xb9fd, -v30
	v_fmamk_f16 v62, v1, 0xb94e, v68
	v_fmac_f16_e32 v30, 0xb9fd, v61
	v_fma_f16 v72, v61, 0x388b, -v37
	v_mul_f16_e32 v74, 0x3a95, v1
	v_add_f16_e32 v39, v39, v44
	v_add_f16_e32 v44, v62, v63
	;; [unrolled: 1-line block ×4, first 2 shown]
	v_fmamk_f16 v38, v64, 0x388b, v74
	v_mul_f16_e32 v63, 0xbb7b, v1
	v_pk_mul_f16 v21, 0x3b15, v21 op_sel_hi:[0,1]
	v_pk_mul_f16 v20, 0xb9fd, v20 op_sel_hi:[0,1]
	v_fmac_f16_e32 v3, 0xbbc4, v61
	v_add_f16_e32 v38, v38, v42
	v_fmamk_f16 v42, v64, 0xb5ac, v63
	v_fmac_f16_e32 v37, 0x388b, v61
	v_mul_f16_sdwa v29, v1, v29 dst_sel:DWORD dst_unused:UNUSED_PAD src0_sel:WORD_1 src1_sel:DWORD
	s_load_dwordx2 s[2:3], s[4:5], 0x8
	v_fma_f16 v62, v64, 0x388b, -v74
	v_add_f16_e32 v17, v42, v17
	v_alignbit_b32 v42, v0, v22, 16
	v_pk_fma_f16 v0, 0x3770, v15, v21 op_sel:[0,0,1] op_sel_hi:[0,1,0] neg_lo:[0,1,0] neg_hi:[0,1,0]
	v_pk_fma_f16 v15, 0x3770, v15, v21 op_sel:[0,0,1] op_sel_hi:[0,1,0]
	v_pk_fma_f16 v21, 0xb94e, v10, v20 op_sel:[0,0,1] op_sel_hi:[0,1,0] neg_lo:[0,1,0] neg_hi:[0,1,0]
	v_pk_fma_f16 v10, 0xb94e, v10, v20 op_sel:[0,0,1] op_sel_hi:[0,1,0]
	v_add_f16_e32 v24, v37, v24
	v_pk_add_f16 v16, v0, v16
	v_mul_lo_u16 v0, v56, 13
	v_pk_add_f16 v15, v15, v9
	v_add_co_u32 v9, s0, v56, 39
	v_add_co_ci_u32_e64 v20, null, 0, 0, s0
	v_and_b32_e32 v0, 0xffff, v0
	v_pk_mul_f16 v20, 0x388b, v73 op_sel_hi:[0,1]
	v_pk_add_f16 v10, v10, v15
	v_fma_f16 v37, v61, 0xb5ac, -v29
	v_pack_b32_f16 v7, v66, v7
	v_lshl_add_u32 v76, v0, 2, v60
	v_add_f16_e32 v0, v3, v8
	v_pk_add_f16 v3, v21, v16
	v_pk_fma_f16 v15, 0x3a95, v70, v20 op_sel:[0,0,1] op_sel_hi:[0,1,0] neg_lo:[0,1,0] neg_hi:[0,1,0]
	v_pk_mul_f16 v16, 0xb5ac, v71 op_sel_hi:[0,1]
	v_mul_f16_e32 v21, 0xb94e, v1
	v_pk_fma_f16 v20, 0x3a95, v70, v20 op_sel:[0,0,1] op_sel_hi:[0,1,0]
	v_pk_mul_f16 v8, 0x3770b3a8, v1
	v_pk_add_f16 v3, v15, v3
	v_pk_fma_f16 v15, 0xbb7b, v19, v16 op_sel:[0,0,1] op_sel_hi:[0,1,0] neg_lo:[0,1,0] neg_hi:[0,1,0]
	v_pk_fma_f16 v16, 0xbb7b, v19, v16 op_sel:[0,0,1] op_sel_hi:[0,1,0]
	v_pk_add_f16 v10, v20, v10
	v_pk_mul_f16 v19, 0x2fb7, v61 op_sel_hi:[0,1]
	v_bfi_b32 v8, 0xffff, v41, v8
	v_pk_add_f16 v3, v15, v3
	v_bfi_b32 v15, 0xffff, v21, v34
	v_pk_add_f16 v21, v69, v34
	v_add_f16_e32 v37, v37, v65
	v_pk_add_f16 v10, v16, v10
	v_pk_fma_f16 v16, 0x3bf1, v1, v19 op_sel:[0,0,1] op_sel_hi:[0,1,0] neg_lo:[0,1,0] neg_hi:[0,1,0]
	v_pk_add_f16 v15, v68, v15 neg_lo:[0,1] neg_hi:[0,1]
	v_pk_fma_f16 v1, 0x3bf1, v1, v19 op_sel:[0,0,1] op_sel_hi:[0,1,0]
	v_add_f16_e32 v32, v62, v32
	v_fmac_f16_e32 v29, 0xb5ac, v61
	v_fma_f16 v62, v64, 0xb5ac, -v63
	v_pack_b32_f16 v2, v2, v22
	v_pk_add_f16 v7, v7, v8
	v_bfi_b32 v8, 0xffff, v15, v21
	v_pack_b32_f16 v22, v31, v38
	v_pack_b32_f16 v20, v39, v44
	;; [unrolled: 1-line block ×3, first 2 shown]
	v_pk_add_f16 v3, v16, v3
	v_pk_add_f16 v1, v1, v10
	v_add_f16_e32 v23, v29, v23
	v_add_f16_e32 v29, v62, v67
	s_waitcnt lgkmcnt(0)
	s_barrier
	buffer_gl0_inv
	ds_write2_b32 v76, v2, v42 offset0:1 offset1:2
	ds_write2_b32 v76, v20, v22 offset0:3 offset1:4
	ds_write2_b32 v76, v18, v17 offset1:5
	v_pk_add_f16 v2, v8, v7
	v_alignbit_b32 v7, v3, v1, 16
	v_alignbit_b32 v1, v1, v3, 16
	v_mul_u32_u24_e32 v64, 13, v9
	v_pack_b32_f16 v3, v24, v32
	v_pack_b32_f16 v8, v23, v29
	v_alignbit_b32 v10, v33, v2, 16
	v_pack_b32_f16 v2, v30, v2
	v_pack_b32_f16 v15, v0, v35
	ds_write2_b32 v76, v1, v7 offset0:6 offset1:7
	ds_write2_b32 v76, v8, v3 offset0:8 offset1:9
	;; [unrolled: 1-line block ×3, first 2 shown]
	ds_write_b32 v76, v15 offset:48
	s_and_saveexec_b32 s0, vcc_lo
	s_cbranch_execz .LBB0_7
; %bb.6:
	v_lshl_add_u32 v1, v64, 2, v60
	v_alignbit_b32 v2, v40, v36, 16
	v_alignbit_b32 v3, v36, v40, 16
	v_perm_b32 v7, v85, v12, 0x5040100
	v_perm_b32 v8, v83, v11, 0x5040100
	ds_write2_b32 v1, v3, v2 offset1:1
	ds_write2_b32 v1, v8, v7 offset0:2 offset1:3
	v_perm_b32 v2, v79, v26, 0x5040100
	v_perm_b32 v3, v86, v25, 0x5040100
	;; [unrolled: 1-line block ×3, first 2 shown]
	v_alignbit_b32 v8, v81, v80, 16
	v_perm_b32 v10, v87, v28, 0x5040100
	v_perm_b32 v15, v82, v27, 0x5040100
	;; [unrolled: 1-line block ×4, first 2 shown]
	v_bfi_b32 v18, 0xffff, v77, v43
	ds_write2_b32 v1, v3, v2 offset0:4 offset1:5
	ds_write2_b32 v1, v7, v8 offset0:6 offset1:7
	;; [unrolled: 1-line block ×4, first 2 shown]
	ds_write_b32 v1, v18 offset:48
.LBB0_7:
	s_or_b32 exec_lo, exec_lo, s0
	v_add_nc_u32_e32 v1, 0x400, v45
	s_waitcnt lgkmcnt(0)
	s_barrier
	buffer_gl0_inv
	ds_read2_b32 v[7:8], v45 offset1:39
	ds_read2_b32 v[33:34], v45 offset0:182 offset1:221
	ds_read2_b32 v[31:32], v1 offset0:108 offset1:147
	;; [unrolled: 1-line block ×5, first 2 shown]
	v_cmp_gt_u16_e64 s0, 26, v56
	v_lshrrev_b32_e32 v37, 16, v36
	s_and_saveexec_b32 s1, s0
	s_cbranch_execz .LBB0_9
; %bb.8:
	v_add_nc_u32_e32 v0, 0x200, v45
	ds_read2_b32 v[0:1], v0 offset0:28 offset1:210
	ds_read_b32 v37, v45 offset:2080
	s_waitcnt lgkmcnt(1)
	v_lshrrev_b32_e32 v35, 16, v0
	v_lshrrev_b32_e32 v36, 16, v1
	s_waitcnt lgkmcnt(0)
	v_alignbit_b32 v40, v1, v37, 16
.LBB0_9:
	s_or_b32 exec_lo, exec_lo, s1
	v_and_b32_e32 v1, 0xff, v56
	v_and_b32_e32 v10, 0xff, v9
	v_add_nc_u16 v16, v56, 0x75
	v_add_nc_u16 v18, v56, 0x9c
	v_mov_b32_e32 v15, 3
	v_mul_lo_u16 v1, 0x4f, v1
	v_mul_lo_u16 v10, 0x4f, v10
	v_and_b32_e32 v19, 0xff, v16
	s_waitcnt lgkmcnt(4)
	v_lshrrev_b32_e32 v70, 16, v33
	s_waitcnt lgkmcnt(3)
	v_lshrrev_b32_e32 v71, 16, v31
	v_lshrrev_b16 v38, 10, v1
	v_add_nc_u16 v1, v56, 0x4e
	v_lshrrev_b16 v39, 10, v10
	v_mul_lo_u16 v19, 0x4f, v19
	v_lshrrev_b32_e32 v73, 16, v34
	v_mul_lo_u16 v10, v38, 13
	v_and_b32_e32 v17, 0xff, v1
	v_mul_lo_u16 v20, v39, 13
	v_lshrrev_b16 v61, 10, v19
	v_lshrrev_b32_e32 v74, 16, v32
	v_sub_nc_u16 v41, v56, v10
	v_mul_lo_u16 v10, 0x4f, v17
	v_and_b32_e32 v17, 0xff, v18
	v_sub_nc_u16 v42, v9, v20
	s_waitcnt lgkmcnt(1)
	v_lshrrev_b32_e32 v88, 16, v21
	v_lshlrev_b32_sdwa v9, v15, v41 dst_sel:DWORD dst_unused:UNUSED_PAD src0_sel:DWORD src1_sel:BYTE_0
	v_lshrrev_b16 v44, 10, v10
	v_mul_lo_u16 v10, 0x4f, v17
	v_lshlrev_b32_sdwa v17, v15, v42 dst_sel:DWORD dst_unused:UNUSED_PAD src0_sel:DWORD src1_sel:BYTE_0
	s_waitcnt lgkmcnt(0)
	v_lshrrev_b32_e32 v89, 16, v29
	global_load_dwordx2 v[23:24], v9, s[2:3]
	v_lshrrev_b32_e32 v91, 16, v22
	v_lshrrev_b16 v62, 10, v10
	global_load_dwordx2 v[19:20], v17, s[2:3]
	v_mul_lo_u16 v9, v44, 13
	v_mul_lo_u16 v10, v61, 13
	v_lshrrev_b32_e32 v92, 16, v30
	v_lshrrev_b32_e32 v69, 16, v7
	;; [unrolled: 1-line block ×3, first 2 shown]
	v_sub_nc_u16 v66, v1, v9
	v_mul_lo_u16 v1, v62, 13
	v_sub_nc_u16 v67, v16, v10
	v_lshrrev_b32_e32 v75, 16, v2
	v_lshrrev_b32_e32 v90, 16, v3
	v_lshlrev_b32_sdwa v9, v15, v66 dst_sel:DWORD dst_unused:UNUSED_PAD src0_sel:DWORD src1_sel:BYTE_0
	v_sub_nc_u16 v63, v18, v1
	v_lshlrev_b32_sdwa v1, v15, v67 dst_sel:DWORD dst_unused:UNUSED_PAD src0_sel:DWORD src1_sel:BYTE_0
	global_load_dwordx2 v[17:18], v9, s[2:3]
	v_lshlrev_b32_sdwa v9, v15, v63 dst_sel:DWORD dst_unused:UNUSED_PAD src0_sel:DWORD src1_sel:BYTE_0
	s_clause 0x1
	global_load_dwordx2 v[15:16], v1, s[2:3]
	global_load_dwordx2 v[9:10], v9, s[2:3]
	v_mov_b32_e32 v1, 39
	s_waitcnt vmcnt(0)
	s_barrier
	buffer_gl0_inv
	v_mul_u32_u24_sdwa v38, v38, v1 dst_sel:DWORD dst_unused:UNUSED_PAD src0_sel:WORD_0 src1_sel:DWORD
	v_mul_u32_u24_sdwa v39, v39, v1 dst_sel:DWORD dst_unused:UNUSED_PAD src0_sel:WORD_0 src1_sel:DWORD
	v_add_nc_u32_sdwa v38, v38, v41 dst_sel:DWORD dst_unused:UNUSED_PAD src0_sel:DWORD src1_sel:BYTE_0
	v_add_nc_u32_sdwa v39, v39, v42 dst_sel:DWORD dst_unused:UNUSED_PAD src0_sel:DWORD src1_sel:BYTE_0
	v_mul_u32_u24_sdwa v41, v44, v1 dst_sel:DWORD dst_unused:UNUSED_PAD src0_sel:WORD_0 src1_sel:DWORD
	v_mul_u32_u24_sdwa v42, v61, v1 dst_sel:DWORD dst_unused:UNUSED_PAD src0_sel:WORD_0 src1_sel:DWORD
	v_lshrrev_b32_e32 v44, 16, v40
	v_lshl_add_u32 v68, v38, 2, v60
	v_lshl_add_u32 v65, v39, 2, v60
	v_add_nc_u32_sdwa v38, v41, v66 dst_sel:DWORD dst_unused:UNUSED_PAD src0_sel:DWORD src1_sel:BYTE_0
	v_add_nc_u32_sdwa v39, v42, v67 dst_sel:DWORD dst_unused:UNUSED_PAD src0_sel:DWORD src1_sel:BYTE_0
	v_lshl_add_u32 v67, v38, 2, v60
	v_lshl_add_u32 v66, v39, 2, v60
	v_mul_f16_sdwa v38, v70, v23 dst_sel:DWORD dst_unused:UNUSED_PAD src0_sel:DWORD src1_sel:WORD_1
	v_mul_f16_sdwa v39, v33, v23 dst_sel:DWORD dst_unused:UNUSED_PAD src0_sel:DWORD src1_sel:WORD_1
	;; [unrolled: 1-line block ×8, first 2 shown]
	v_fma_f16 v33, v33, v23, -v38
	v_fmac_f16_e32 v39, v70, v23
	v_fma_f16 v38, v31, v24, -v41
	v_fmac_f16_e32 v42, v71, v24
	;; [unrolled: 2-line block ×4, first 2 shown]
	v_mul_f16_sdwa v61, v88, v17 dst_sel:DWORD dst_unused:UNUSED_PAD src0_sel:DWORD src1_sel:WORD_1
	v_mul_f16_sdwa v70, v21, v17 dst_sel:DWORD dst_unused:UNUSED_PAD src0_sel:DWORD src1_sel:WORD_1
	;; [unrolled: 1-line block ×12, first 2 shown]
	v_fma_f16 v61, v21, v17, -v61
	v_fmac_f16_e32 v70, v88, v17
	v_fma_f16 v71, v29, v18, -v71
	v_fmac_f16_e32 v73, v89, v18
	;; [unrolled: 2-line block ×5, first 2 shown]
	v_add_f16_e32 v36, v7, v33
	v_add_f16_e32 v37, v33, v38
	v_sub_f16_e32 v40, v39, v42
	v_add_f16_e32 v44, v69, v39
	v_add_f16_e32 v39, v39, v42
	;; [unrolled: 1-line block ×5, first 2 shown]
	v_fmac_f16_e32 v94, v91, v15
	v_fma_f16 v30, v30, v16, -v96
	v_add_f16_e32 v91, v72, v93
	v_sub_f16_e32 v33, v33, v38
	v_sub_f16_e32 v34, v34, v41
	v_add_f16_e32 v36, v36, v38
	v_fma_f16 v37, -0.5, v37, v7
	v_add_f16_e32 v38, v44, v42
	v_fmac_f16_e32 v69, -0.5, v39
	v_add_f16_e32 v39, v74, v41
	v_fmac_f16_e32 v8, -0.5, v88
	v_fmac_f16_e32 v72, -0.5, v92
	v_add_f16_e32 v42, v2, v61
	v_add_f16_e32 v44, v61, v71
	v_sub_f16_e32 v74, v70, v73
	v_add_f16_e32 v88, v75, v70
	v_add_f16_e32 v70, v70, v73
	v_sub_f16_e32 v89, v93, v95
	;; [unrolled: 3-line block ×3, first 2 shown]
	v_add_f16_e32 v95, v90, v94
	v_add_f16_e32 v94, v94, v97
	;; [unrolled: 1-line block ×4, first 2 shown]
	v_sub_f16_e32 v61, v61, v71
	v_fmamk_f16 v100, v40, 0x3aee, v37
	v_fmac_f16_e32 v37, 0xbaee, v40
	v_fmamk_f16 v40, v33, 0xbaee, v69
	v_fmamk_f16 v102, v34, 0xbaee, v72
	v_fmac_f16_e32 v72, 0x3aee, v34
	v_add_f16_e32 v34, v42, v71
	v_fma_f16 v42, -0.5, v44, v2
	v_fmac_f16_e32 v75, -0.5, v70
	v_fmac_f16_e32 v69, 0x3aee, v33
	v_add_f16_e32 v91, v3, v29
	v_sub_f16_e32 v96, v29, v30
	v_fmamk_f16 v101, v89, 0x3aee, v8
	v_fmac_f16_e32 v3, -0.5, v92
	v_fmac_f16_e32 v90, -0.5, v94
	v_sub_f16_e32 v7, v32, v31
	v_sub_f16_e32 v29, v22, v21
	v_fmac_f16_e32 v8, 0xbaee, v89
	v_fma_f16 v2, -0.5, v98, v0
	v_fma_f16 v33, -0.5, v99, v35
	v_add_f16_e32 v44, v88, v73
	v_pack_b32_f16 v36, v36, v38
	v_pack_b32_f16 v38, v39, v41
	v_fmamk_f16 v39, v74, 0x3aee, v42
	v_fmamk_f16 v41, v61, 0xbaee, v75
	v_pack_b32_f16 v40, v100, v40
	v_fmac_f16_e32 v42, 0xbaee, v74
	v_fmac_f16_e32 v75, 0x3aee, v61
	v_pack_b32_f16 v37, v37, v69
	v_add_f16_e32 v70, v91, v30
	v_add_f16_e32 v71, v95, v97
	v_fmamk_f16 v61, v93, 0x3aee, v3
	v_fmamk_f16 v73, v96, 0xbaee, v90
	v_pack_b32_f16 v69, v101, v102
	v_fmac_f16_e32 v3, 0xbaee, v93
	v_fmac_f16_e32 v90, 0x3aee, v96
	v_fmamk_f16 v30, v7, 0xbaee, v2
	v_fmamk_f16 v89, v29, 0x3aee, v33
	v_pack_b32_f16 v8, v8, v72
	v_pack_b32_f16 v34, v34, v44
	ds_write2_b32 v68, v36, v40 offset1:13
	ds_write_b32 v68, v37 offset:104
	ds_write2_b32 v65, v38, v69 offset1:13
	v_pack_b32_f16 v36, v39, v41
	v_pack_b32_f16 v37, v42, v75
	;; [unrolled: 1-line block ×5, first 2 shown]
	ds_write_b32 v65, v8 offset:104
	ds_write2_b32 v67, v34, v36 offset1:13
	ds_write_b32 v67, v37 offset:104
	ds_write2_b32 v66, v44, v38 offset1:13
	ds_write_b32 v66, v3 offset:104
	s_and_saveexec_b32 s1, s0
	s_cbranch_execz .LBB0_11
; %bb.10:
	v_mul_f16_e32 v3, 0x3aee, v29
	v_add_f16_e32 v8, v35, v32
	v_mul_u32_u24_sdwa v1, v62, v1 dst_sel:DWORD dst_unused:UNUSED_PAD src0_sel:WORD_0 src1_sel:DWORD
	v_add_f16_e32 v0, v0, v22
	v_mul_f16_e32 v7, 0x3aee, v7
	v_sub_f16_e32 v3, v33, v3
	v_add_f16_e32 v8, v8, v31
	v_add_nc_u32_sdwa v1, v1, v63 dst_sel:DWORD dst_unused:UNUSED_PAD src0_sel:DWORD src1_sel:BYTE_0
	v_add_f16_e32 v0, v0, v21
	v_add_f16_e32 v2, v7, v2
	v_lshl_add_u32 v1, v1, 2, v60
	v_pack_b32_f16 v0, v0, v8
	v_pack_b32_f16 v2, v2, v3
	v_perm_b32 v3, v89, v30, 0x5040100
	ds_write2_b32 v1, v0, v2 offset1:13
	ds_write_b32 v1, v3 offset:104
.LBB0_11:
	s_or_b32 exec_lo, exec_lo, s1
	v_mad_u64_u32 v[7:8], null, v56, 24, s[2:3]
	s_waitcnt lgkmcnt(0)
	s_barrier
	buffer_gl0_inv
	v_add_nc_u32_e32 v33, 0x200, v45
	v_add_nc_u32_e32 v41, 0x400, v45
	v_mul_i32_i24_e32 v40, 0xffffffec, v56
	s_clause 0x1
	global_load_dwordx4 v[0:3], v[7:8], off offset:104
	global_load_dwordx2 v[21:22], v[7:8], off offset:120
	ds_read2_b32 v[31:32], v45 offset0:78 offset1:117
	ds_read2_b32 v[34:35], v45 offset0:156 offset1:195
	ds_read2_b32 v[36:37], v33 offset0:106 offset1:145
	ds_read2_b32 v[38:39], v41 offset0:56 offset1:95
	ds_read2_b32 v[69:70], v41 offset0:134 offset1:173
	ds_read2_b32 v[71:72], v41 offset0:212 offset1:251
	ds_read2_b32 v[73:74], v45 offset1:39
	v_mul_hi_i32_i24_e32 v29, 0xffffffec, v56
	v_add_co_u32 v7, s1, v7, v40
	s_waitcnt vmcnt(0) lgkmcnt(0)
	s_barrier
	v_add_co_ci_u32_e64 v8, s1, v8, v29, s1
	buffer_gl0_inv
	v_lshrrev_b32_e32 v40, 16, v34
	v_lshrrev_b32_e32 v61, 16, v36
	;; [unrolled: 1-line block ×12, first 2 shown]
	v_mul_f16_sdwa v95, v29, v0 dst_sel:DWORD dst_unused:UNUSED_PAD src0_sel:DWORD src1_sel:WORD_1
	v_mul_f16_sdwa v96, v31, v0 dst_sel:DWORD dst_unused:UNUSED_PAD src0_sel:DWORD src1_sel:WORD_1
	;; [unrolled: 1-line block ×20, first 2 shown]
	v_fma_f16 v31, v31, v0, -v95
	v_fmac_f16_e32 v96, v29, v0
	v_fma_f16 v29, v34, v1, -v97
	v_fmac_f16_e32 v98, v40, v1
	v_fma_f16 v34, v36, v2, -v99
	v_fma_f16 v36, v38, v3, -v101
	v_fma_f16 v38, v69, v21, -v103
	v_fmac_f16_e32 v104, v88, v21
	v_fma_f16 v40, v71, v22, -v105
	v_fmac_f16_e32 v106, v90, v22
	v_mul_f16_sdwa v111, v91, v2 dst_sel:DWORD dst_unused:UNUSED_PAD src0_sel:DWORD src1_sel:WORD_1
	v_mul_f16_sdwa v112, v37, v2 dst_sel:DWORD dst_unused:UNUSED_PAD src0_sel:DWORD src1_sel:WORD_1
	;; [unrolled: 1-line block ×4, first 2 shown]
	v_fmac_f16_e32 v100, v61, v2
	v_fmac_f16_e32 v102, v75, v3
	v_fma_f16 v32, v32, v0, -v107
	v_fmac_f16_e32 v108, v42, v0
	v_fma_f16 v35, v35, v1, -v109
	;; [unrolled: 2-line block ×4, first 2 shown]
	v_fmac_f16_e32 v118, v94, v22
	v_add_f16_e32 v61, v31, v40
	v_add_f16_e32 v69, v96, v106
	;; [unrolled: 1-line block ×4, first 2 shown]
	v_fma_f16 v37, v37, v2, -v111
	v_fmac_f16_e32 v112, v91, v2
	v_fma_f16 v39, v39, v3, -v113
	v_fmac_f16_e32 v114, v92, v3
	v_sub_f16_e32 v31, v31, v40
	v_sub_f16_e32 v40, v96, v106
	v_sub_f16_e32 v29, v29, v38
	v_sub_f16_e32 v38, v98, v104
	v_add_f16_e32 v72, v34, v36
	v_add_f16_e32 v75, v100, v102
	v_sub_f16_e32 v34, v36, v34
	v_sub_f16_e32 v36, v102, v100
	v_add_f16_e32 v88, v32, v44
	v_add_f16_e32 v90, v108, v118
	;; [unrolled: 1-line block ×6, first 2 shown]
	v_sub_f16_e32 v32, v32, v44
	v_sub_f16_e32 v44, v108, v118
	v_sub_f16_e32 v35, v35, v42
	v_sub_f16_e32 v42, v110, v116
	v_add_f16_e32 v93, v37, v39
	v_sub_f16_e32 v37, v39, v37
	v_sub_f16_e32 v39, v114, v112
	v_add_f16_e32 v94, v112, v114
	v_sub_f16_e32 v97, v70, v61
	v_sub_f16_e32 v98, v71, v69
	v_sub_f16_e32 v61, v61, v72
	v_sub_f16_e32 v69, v69, v75
	v_sub_f16_e32 v70, v72, v70
	v_sub_f16_e32 v71, v75, v71
	v_add_f16_e32 v99, v34, v29
	v_add_f16_e32 v100, v36, v38
	v_sub_f16_e32 v101, v34, v29
	v_sub_f16_e32 v102, v36, v38
	;; [unrolled: 1-line block ×4, first 2 shown]
	v_add_f16_e32 v103, v91, v88
	v_add_f16_e32 v104, v92, v90
	;; [unrolled: 1-line block ×4, first 2 shown]
	v_sub_f16_e32 v105, v91, v88
	v_sub_f16_e32 v91, v93, v91
	v_add_f16_e32 v107, v37, v35
	v_add_f16_e32 v108, v39, v42
	v_sub_f16_e32 v109, v37, v35
	v_sub_f16_e32 v110, v39, v42
	;; [unrolled: 1-line block ×10, first 2 shown]
	v_add_f16_e32 v31, v99, v31
	v_add_f16_e32 v40, v100, v40
	v_mul_f16_e32 v61, 0x3a52, v61
	v_mul_f16_e32 v69, 0x3a52, v69
	;; [unrolled: 1-line block ×8, first 2 shown]
	v_add_f16_e32 v93, v93, v103
	v_add_f16_e32 v94, v94, v104
	;; [unrolled: 1-line block ×3, first 2 shown]
	v_add_f16_sdwa v73, v73, v75 dst_sel:DWORD dst_unused:UNUSED_PAD src0_sel:WORD_1 src1_sel:DWORD
	v_sub_f16_e32 v37, v32, v37
	v_sub_f16_e32 v39, v44, v39
	v_add_f16_e32 v32, v107, v32
	v_add_f16_e32 v44, v108, v44
	v_mul_f16_e32 v103, 0x2b26, v91
	v_mul_f16_e32 v107, 0xb846, v109
	;; [unrolled: 1-line block ×8, first 2 shown]
	v_fmamk_f16 v70, v70, 0x2b26, v61
	v_fmamk_f16 v71, v71, 0x2b26, v69
	v_fma_f16 v95, v97, 0x39e0, -v95
	v_fma_f16 v96, v98, 0x39e0, -v96
	;; [unrolled: 1-line block ×4, first 2 shown]
	v_fmamk_f16 v97, v34, 0x3574, v99
	v_fmamk_f16 v98, v36, 0x3574, v100
	v_fma_f16 v29, v29, 0x3b00, -v99
	v_fma_f16 v38, v38, 0x3b00, -v100
	;; [unrolled: 1-line block ×4, first 2 shown]
	v_add_f16_e32 v99, v74, v93
	v_add_f16_sdwa v74, v74, v94 dst_sel:DWORD dst_unused:UNUSED_PAD src0_sel:WORD_1 src1_sel:DWORD
	v_fmamk_f16 v72, v72, 0xbcab, v111
	v_fmamk_f16 v75, v75, 0xbcab, v73
	v_fma_f16 v100, v105, 0x39e0, -v103
	v_fmamk_f16 v102, v37, 0x3574, v107
	v_fmamk_f16 v103, v39, 0x3574, v108
	v_fma_f16 v35, v35, 0x3b00, -v107
	v_fma_f16 v42, v42, 0x3b00, -v108
	;; [unrolled: 1-line block ×4, first 2 shown]
	v_fmamk_f16 v91, v91, 0x2b26, v88
	v_fmamk_f16 v92, v92, 0x2b26, v90
	v_fma_f16 v101, v106, 0x39e0, -v104
	v_fma_f16 v88, v105, 0xb9e0, -v88
	v_fma_f16 v90, v106, 0xb9e0, -v90
	v_fmac_f16_e32 v97, 0x370e, v31
	v_fmac_f16_e32 v98, 0x370e, v40
	;; [unrolled: 1-line block ×6, first 2 shown]
	v_fmamk_f16 v31, v93, 0xbcab, v99
	v_fmamk_f16 v40, v94, 0xbcab, v74
	v_add_f16_e32 v70, v70, v72
	v_add_f16_e32 v71, v71, v75
	v_fmac_f16_e32 v102, 0x370e, v32
	v_fmac_f16_e32 v103, 0x370e, v44
	;; [unrolled: 1-line block ×6, first 2 shown]
	v_pack_b32_f16 v32, v111, v73
	v_pack_b32_f16 v44, v99, v74
	v_add_f16_e32 v73, v95, v72
	v_add_f16_e32 v74, v96, v75
	;; [unrolled: 1-line block ×11, first 2 shown]
	v_sub_f16_e32 v90, v71, v97
	v_add_f16_e32 v93, v36, v61
	v_sub_f16_e32 v94, v69, v34
	v_sub_f16_e32 v95, v73, v38
	v_add_f16_e32 v96, v29, v74
	v_add_f16_e32 v38, v38, v73
	v_sub_f16_e32 v29, v74, v29
	v_sub_f16_e32 v36, v61, v36
	v_add_f16_e32 v34, v34, v69
	v_sub_f16_e32 v61, v70, v98
	v_add_f16_e32 v69, v97, v71
	v_add_f16_e32 v70, v103, v72
	v_sub_f16_e32 v71, v75, v102
	v_add_f16_e32 v73, v39, v31
	v_sub_f16_e32 v74, v40, v37
	v_sub_f16_e32 v97, v91, v42
	v_add_f16_e32 v98, v35, v92
	v_add_f16_e32 v42, v42, v91
	v_sub_f16_e32 v35, v92, v35
	v_sub_f16_e32 v31, v31, v39
	v_add_f16_e32 v37, v37, v40
	v_sub_f16_e32 v39, v72, v103
	v_add_f16_e32 v40, v102, v75
	v_pack_b32_f16 v72, v88, v90
	v_pack_b32_f16 v75, v93, v94
	;; [unrolled: 1-line block ×12, first 2 shown]
	ds_write2_b32 v45, v32, v72 offset1:39
	ds_write2_b32 v45, v75, v88 offset0:78 offset1:117
	ds_write2_b32 v45, v29, v34 offset0:156 offset1:195
	;; [unrolled: 1-line block ×6, first 2 shown]
	s_waitcnt lgkmcnt(0)
	s_barrier
	buffer_gl0_inv
	s_clause 0x6
	global_load_dword v75, v[7:8], off offset:1040
	global_load_dword v71, v[7:8], off offset:1196
	;; [unrolled: 1-line block ×7, first 2 shown]
	ds_read2_b32 v[35:36], v45 offset1:39
	ds_read2_b32 v[37:38], v33 offset0:106 offset1:145
	ds_read2_b32 v[39:40], v41 offset0:56 offset1:95
	;; [unrolled: 1-line block ×6, first 2 shown]
	v_lshl_add_u32 v61, v56, 2, v60
	v_add_co_u32 v31, s1, 0x888, v4
	v_add_co_ci_u32_e64 v32, s1, 0, v5, s1
	v_add_nc_u32_e32 v34, 0x400, v61
	v_add_co_u32 v7, s1, 0x800, v4
	v_add_co_ci_u32_e64 v8, s1, 0, v5, s1
	s_waitcnt lgkmcnt(6)
	v_lshrrev_b32_e32 v42, 16, v35
	s_waitcnt lgkmcnt(5)
	v_lshrrev_b32_e32 v29, 16, v38
	s_waitcnt lgkmcnt(4)
	v_lshrrev_b32_e32 v88, 16, v39
	v_lshrrev_b32_e32 v99, 16, v40
	s_waitcnt lgkmcnt(2)
	v_lshrrev_b32_e32 v101, 16, v92
	v_lshrrev_b32_e32 v103, 16, v93
	s_waitcnt lgkmcnt(0)
	v_lshrrev_b32_e32 v105, 16, v96
	v_lshrrev_b32_e32 v107, 16, v97
	;; [unrolled: 1-line block ×8, first 2 shown]
	s_waitcnt vmcnt(6)
	v_mul_f16_sdwa v108, v29, v75 dst_sel:DWORD dst_unused:UNUSED_PAD src0_sel:DWORD src1_sel:WORD_1
	v_mul_f16_sdwa v109, v38, v75 dst_sel:DWORD dst_unused:UNUSED_PAD src0_sel:DWORD src1_sel:WORD_1
	s_waitcnt vmcnt(5)
	v_mul_f16_sdwa v110, v88, v71 dst_sel:DWORD dst_unused:UNUSED_PAD src0_sel:DWORD src1_sel:WORD_1
	v_mul_f16_sdwa v111, v39, v71 dst_sel:DWORD dst_unused:UNUSED_PAD src0_sel:DWORD src1_sel:WORD_1
	;; [unrolled: 3-line block ×7, first 2 shown]
	v_fma_f16 v38, v38, v75, -v108
	v_fmac_f16_e32 v109, v29, v75
	v_fma_f16 v29, v39, v71, -v110
	v_fmac_f16_e32 v111, v88, v71
	;; [unrolled: 2-line block ×7, first 2 shown]
	v_sub_f16_e32 v38, v35, v38
	v_sub_f16_e32 v96, v42, v109
	;; [unrolled: 1-line block ×14, first 2 shown]
	v_fma_f16 v35, v35, 2.0, -v38
	v_fma_f16 v42, v42, 2.0, -v96
	v_fma_f16 v36, v36, 2.0, -v97
	v_fma_f16 v44, v44, 2.0, -v99
	v_fma_f16 v90, v90, 2.0, -v39
	v_fma_f16 v93, v98, 2.0, -v101
	v_pack_b32_f16 v38, v38, v96
	v_pack_b32_f16 v96, v97, v99
	v_fma_f16 v91, v91, 2.0, -v40
	v_fma_f16 v98, v100, 2.0, -v103
	;; [unrolled: 1-line block ×4, first 2 shown]
	v_pack_b32_f16 v39, v39, v101
	v_pack_b32_f16 v40, v40, v103
	v_fma_f16 v95, v95, 2.0, -v92
	v_fma_f16 v102, v104, 2.0, -v108
	v_fma_f16 v37, v37, 2.0, -v29
	v_fma_f16 v104, v106, 2.0, -v88
	v_pack_b32_f16 v97, v105, v107
	v_pack_b32_f16 v35, v35, v42
	;; [unrolled: 1-line block ×3, first 2 shown]
	ds_write2_b32 v34, v38, v96 offset0:17 offset1:56
	v_pack_b32_f16 v38, v90, v93
	v_pack_b32_f16 v42, v91, v98
	ds_write2_b32 v34, v39, v40 offset0:95 offset1:134
	v_pack_b32_f16 v39, v94, v100
	v_pack_b32_f16 v40, v95, v102
	;; [unrolled: 1-line block ×4, first 2 shown]
	ds_write_b32 v61, v97 offset:1716
	v_pack_b32_f16 v37, v37, v104
	ds_write_b32 v45, v35
	ds_write2_b32 v61, v36, v38 offset0:39 offset1:78
	ds_write2_b32 v61, v42, v39 offset0:117 offset1:156
	ds_write_b32 v61, v40 offset:780
	ds_write_b32 v45, v92 offset:1872
	;; [unrolled: 1-line block ×4, first 2 shown]
	s_waitcnt lgkmcnt(0)
	s_barrier
	buffer_gl0_inv
	s_clause 0xc
	global_load_dword v42, v[7:8], off offset:136
	global_load_dword v44, v[31:32], off offset:168
	;; [unrolled: 1-line block ×13, first 2 shown]
	ds_read2_b32 v[35:36], v45 offset1:42
	ds_read2_b32 v[37:38], v45 offset0:84 offset1:126
	ds_read2_b32 v[39:40], v45 offset0:168 offset1:210
	;; [unrolled: 1-line block ×5, first 2 shown]
	ds_read_b32 v107, v45 offset:2016
	s_waitcnt lgkmcnt(6)
	v_lshrrev_b32_e32 v108, 16, v35
	v_lshrrev_b32_e32 v109, 16, v36
	s_waitcnt lgkmcnt(5)
	v_lshrrev_b32_e32 v110, 16, v37
	v_lshrrev_b32_e32 v111, 16, v38
	;; [unrolled: 3-line block ×6, first 2 shown]
	s_waitcnt lgkmcnt(0)
	v_lshrrev_b32_e32 v120, 16, v107
	s_waitcnt vmcnt(12)
	v_mul_f16_sdwa v121, v108, v42 dst_sel:DWORD dst_unused:UNUSED_PAD src0_sel:DWORD src1_sel:WORD_1
	v_mul_f16_sdwa v122, v35, v42 dst_sel:DWORD dst_unused:UNUSED_PAD src0_sel:DWORD src1_sel:WORD_1
	s_waitcnt vmcnt(11)
	v_mul_f16_sdwa v123, v109, v44 dst_sel:DWORD dst_unused:UNUSED_PAD src0_sel:DWORD src1_sel:WORD_1
	v_mul_f16_sdwa v124, v36, v44 dst_sel:DWORD dst_unused:UNUSED_PAD src0_sel:DWORD src1_sel:WORD_1
	;; [unrolled: 3-line block ×13, first 2 shown]
	v_fma_f16 v35, v35, v42, -v121
	v_fmac_f16_e32 v122, v108, v42
	v_fma_f16 v36, v36, v44, -v123
	v_fmac_f16_e32 v124, v109, v44
	;; [unrolled: 2-line block ×13, first 2 shown]
	v_pack_b32_f16 v35, v35, v122
	v_pack_b32_f16 v36, v36, v124
	;; [unrolled: 1-line block ×13, first 2 shown]
	ds_write2_b32 v45, v35, v36 offset1:42
	ds_write2_b32 v45, v37, v38 offset0:84 offset1:126
	ds_write2_b32 v45, v39, v40 offset0:168 offset1:210
	;; [unrolled: 1-line block ×5, first 2 shown]
	ds_write_b32 v45, v94 offset:2016
	s_and_saveexec_b32 s2, vcc_lo
	s_cbranch_execz .LBB0_13
; %bb.12:
	s_clause 0xb
	global_load_dword v42, v[31:32], off offset:156
	global_load_dword v44, v[31:32], off offset:324
	;; [unrolled: 1-line block ×12, first 2 shown]
	v_add_co_u32 v31, s1, 0x800, v31
	v_add_co_ci_u32_e64 v32, s1, 0, v32, s1
	global_load_dword v104, v[31:32], off offset:124
	ds_read2_b32 v[31:32], v61 offset0:39 offset1:81
	ds_read2_b32 v[35:36], v61 offset0:123 offset1:165
	;; [unrolled: 1-line block ×6, first 2 shown]
	ds_read_b32 v105, v61 offset:2172
	s_waitcnt lgkmcnt(6)
	v_lshrrev_b32_e32 v106, 16, v31
	v_lshrrev_b32_e32 v107, 16, v32
	s_waitcnt lgkmcnt(5)
	v_lshrrev_b32_e32 v108, 16, v35
	v_lshrrev_b32_e32 v109, 16, v36
	s_waitcnt lgkmcnt(2)
	v_lshrrev_b32_e32 v114, 16, v90
	v_lshrrev_b32_e32 v115, 16, v91
	s_waitcnt lgkmcnt(1)
	v_lshrrev_b32_e32 v116, 16, v92
	v_lshrrev_b32_e32 v117, 16, v93
	v_lshrrev_b32_e32 v110, 16, v37
	v_lshrrev_b32_e32 v111, 16, v38
	;; [unrolled: 1-line block ×4, first 2 shown]
	s_waitcnt lgkmcnt(0)
	v_lshrrev_b32_e32 v118, 16, v105
	s_waitcnt vmcnt(12)
	v_mul_f16_sdwa v119, v106, v42 dst_sel:DWORD dst_unused:UNUSED_PAD src0_sel:DWORD src1_sel:WORD_1
	v_mul_f16_sdwa v120, v31, v42 dst_sel:DWORD dst_unused:UNUSED_PAD src0_sel:DWORD src1_sel:WORD_1
	s_waitcnt vmcnt(11)
	v_mul_f16_sdwa v121, v107, v44 dst_sel:DWORD dst_unused:UNUSED_PAD src0_sel:DWORD src1_sel:WORD_1
	v_mul_f16_sdwa v122, v32, v44 dst_sel:DWORD dst_unused:UNUSED_PAD src0_sel:DWORD src1_sel:WORD_1
	;; [unrolled: 3-line block ×4, first 2 shown]
	s_waitcnt vmcnt(4)
	v_mul_f16_sdwa v135, v114, v100 dst_sel:DWORD dst_unused:UNUSED_PAD src0_sel:DWORD src1_sel:WORD_1
	s_waitcnt vmcnt(3)
	v_mul_f16_sdwa v137, v115, v101 dst_sel:DWORD dst_unused:UNUSED_PAD src0_sel:DWORD src1_sel:WORD_1
	s_waitcnt vmcnt(2)
	v_mul_f16_sdwa v139, v116, v102 dst_sel:DWORD dst_unused:UNUSED_PAD src0_sel:DWORD src1_sel:WORD_1
	s_waitcnt vmcnt(1)
	v_mul_f16_sdwa v141, v117, v103 dst_sel:DWORD dst_unused:UNUSED_PAD src0_sel:DWORD src1_sel:WORD_1
	v_mul_f16_sdwa v127, v110, v96 dst_sel:DWORD dst_unused:UNUSED_PAD src0_sel:DWORD src1_sel:WORD_1
	v_mul_f16_sdwa v128, v37, v96 dst_sel:DWORD dst_unused:UNUSED_PAD src0_sel:DWORD src1_sel:WORD_1
	;; [unrolled: 1-line block ×12, first 2 shown]
	v_fma_f16 v31, v31, v42, -v119
	v_fmac_f16_e32 v120, v106, v42
	v_fma_f16 v32, v32, v44, -v121
	v_fmac_f16_e32 v122, v107, v44
	v_fma_f16 v42, v90, v100, -v135
	v_fma_f16 v44, v91, v101, -v137
	;; [unrolled: 1-line block ×4, first 2 shown]
	s_waitcnt vmcnt(0)
	v_mul_f16_sdwa v92, v118, v104 dst_sel:DWORD dst_unused:UNUSED_PAD src0_sel:DWORD src1_sel:WORD_1
	v_mul_f16_sdwa v93, v105, v104 dst_sel:DWORD dst_unused:UNUSED_PAD src0_sel:DWORD src1_sel:WORD_1
	v_fma_f16 v35, v35, v94, -v123
	v_fmac_f16_e32 v124, v108, v94
	v_fma_f16 v36, v36, v95, -v125
	v_fmac_f16_e32 v126, v109, v95
	;; [unrolled: 2-line block ×6, first 2 shown]
	v_fmac_f16_e32 v136, v114, v100
	v_fmac_f16_e32 v138, v115, v101
	;; [unrolled: 1-line block ×4, first 2 shown]
	v_pack_b32_f16 v31, v31, v120
	v_pack_b32_f16 v32, v32, v122
	v_fma_f16 v92, v105, v104, -v92
	v_fmac_f16_e32 v93, v118, v104
	v_pack_b32_f16 v35, v35, v124
	v_pack_b32_f16 v36, v36, v126
	;; [unrolled: 1-line block ×10, first 2 shown]
	ds_write2_b32 v61, v31, v32 offset0:39 offset1:81
	ds_write2_b32 v61, v35, v36 offset0:123 offset1:165
	v_pack_b32_f16 v31, v92, v93
	ds_write2_b32 v61, v37, v38 offset0:207 offset1:249
	ds_write2_b32 v34, v39, v40 offset0:35 offset1:77
	;; [unrolled: 1-line block ×4, first 2 shown]
	ds_write_b32 v61, v31 offset:2172
.LBB0_13:
	s_or_b32 exec_lo, exec_lo, s2
	s_waitcnt lgkmcnt(0)
	s_barrier
	buffer_gl0_inv
	ds_read2_b32 v[31:32], v45 offset1:42
	ds_read2_b32 v[39:40], v45 offset0:84 offset1:126
	ds_read2_b32 v[35:36], v45 offset0:168 offset1:210
	;; [unrolled: 1-line block ×5, first 2 shown]
	ds_read_b32 v110, v45 offset:2016
	v_lshrrev_b32_e32 v44, 16, v80
	s_and_saveexec_b32 s1, vcc_lo
	s_cbranch_execz .LBB0_15
; %bb.14:
	v_add_nc_u32_e32 v13, 0x400, v61
	ds_read2_b32 v[29:30], v61 offset0:39 offset1:81
	ds_read2_b32 v[11:12], v61 offset0:123 offset1:165
	;; [unrolled: 1-line block ×6, first 2 shown]
	ds_read_b32 v77, v61 offset:2172
	s_waitcnt lgkmcnt(5)
	v_lshrrev_b32_e32 v83, 16, v11
	v_lshrrev_b32_e32 v85, 16, v12
	s_waitcnt lgkmcnt(4)
	v_lshrrev_b32_e32 v86, 16, v25
	v_lshrrev_b32_e32 v88, 16, v29
	;; [unrolled: 1-line block ×4, first 2 shown]
	s_waitcnt lgkmcnt(3)
	v_lshrrev_b32_e32 v80, 16, v43
	v_lshrrev_b32_e32 v81, 16, v44
	s_waitcnt lgkmcnt(2)
	v_lshrrev_b32_e32 v82, 16, v27
	v_lshrrev_b32_e32 v87, 16, v28
	s_waitcnt lgkmcnt(1)
	v_lshrrev_b32_e32 v84, 16, v13
	v_lshrrev_b32_e32 v78, 16, v14
	s_waitcnt lgkmcnt(0)
	v_bfi_b32 v43, 0xffff, v43, v77
.LBB0_15:
	s_or_b32 exec_lo, exec_lo, s1
	v_add_f16_e32 v91, v30, v29
	v_add_f16_e32 v92, v89, v88
	v_add_f16_sdwa v103, v43, v89 dst_sel:DWORD dst_unused:UNUSED_PAD src0_sel:WORD_1 src1_sel:DWORD
	v_sub_f16_sdwa v98, v89, v43 dst_sel:DWORD dst_unused:UNUSED_PAD src0_sel:DWORD src1_sel:WORD_1
	v_add_f16_e32 v90, v77, v30
	v_add_f16_e32 v91, v11, v91
	;; [unrolled: 1-line block ×3, first 2 shown]
	v_sub_f16_e32 v94, v30, v77
	v_add_f16_e32 v30, v14, v11
	v_sub_f16_e32 v95, v11, v14
	v_add_f16_e32 v91, v12, v91
	v_add_f16_e32 v11, v85, v89
	;; [unrolled: 1-line block ×3, first 2 shown]
	v_sub_f16_e32 v99, v83, v78
	v_add_f16_e32 v83, v13, v12
	v_add_f16_e32 v89, v25, v91
	v_sub_f16_e32 v96, v12, v13
	v_add_f16_e32 v11, v86, v11
	v_mul_f16_e32 v93, 0xb770, v94
	v_add_f16_e32 v101, v84, v85
	v_add_f16_e32 v12, v26, v89
	v_sub_f16_e32 v102, v85, v84
	v_add_f16_e32 v11, v79, v11
	v_add_f16_e32 v85, v28, v25
	v_sub_f16_e32 v97, v25, v28
	v_add_f16_e32 v12, v43, v12
	v_mul_f16_e32 v92, 0xba95, v95
	v_add_f16_e32 v11, v80, v11
	s_waitcnt lgkmcnt(6)
	v_pk_add_f16 v106, v31, v32
	v_mul_f16_e32 v89, 0xbbf1, v96
	v_add_f16_e32 v12, v44, v12
	v_fma_f16 v109, v100, 0x388b, -v92
	v_add_f16_e32 v11, v81, v11
	v_mul_f16_e32 v91, 0xb770, v98
	v_add_f16_e32 v104, v87, v86
	v_add_f16_e32 v12, v27, v12
	v_sub_f16_e32 v105, v86, v87
	v_add_f16_e32 v11, v82, v11
	v_mul_f16_e32 v86, 0xba95, v99
	v_fmamk_f16 v107, v90, 0x3b15, v91
	v_add_f16_e32 v12, v28, v12
	v_fma_f16 v28, v103, 0x3b15, -v93
	v_add_f16_e32 v11, v87, v11
	v_mul_f16_e32 v25, 0xbbf1, v102
	v_fmamk_f16 v108, v30, 0x388b, v86
	v_add_f16_e32 v12, v13, v12
	v_add_f16_e32 v28, v88, v28
	;; [unrolled: 1-line block ×3, first 2 shown]
	v_fma_f16 v84, v101, 0x2fb7, -v89
	v_add_f16_e32 v13, v29, v107
	v_add_f16_e32 v12, v14, v12
	;; [unrolled: 1-line block ×3, first 2 shown]
	v_fmamk_f16 v87, v83, 0x2fb7, v25
	v_mul_f16_e32 v14, 0xbb7b, v97
	v_add_f16_e32 v107, v108, v13
	v_add_f16_e32 v12, v77, v12
	s_waitcnt lgkmcnt(5)
	v_pk_add_f16 v77, v106, v39
	v_add_f16_e32 v106, v84, v28
	v_add_f16_e32 v11, v78, v11
	v_mul_f16_e32 v13, 0xbb7b, v105
	v_add_f16_e32 v78, v87, v107
	v_pk_add_f16 v28, v77, v40
	v_fma_f16 v109, v104, 0xb5ac, -v14
	v_sub_f16_e32 v87, v79, v82
	v_sub_f16_e32 v84, v26, v27
	v_fmamk_f16 v108, v85, 0xb5ac, v13
	s_waitcnt lgkmcnt(4)
	v_pk_add_f16 v77, v28, v35
	v_add_f16_e32 v27, v27, v26
	v_add_f16_e32 v107, v82, v79
	v_mul_f16_e32 v26, 0xb94e, v87
	v_mul_f16_e32 v28, 0xb94e, v84
	v_pk_add_f16 v77, v77, v36
	v_add_f16_e32 v109, v109, v106
	v_sub_f16_e32 v106, v80, v81
	v_sub_f16_e32 v82, v43, v44
	v_add_f16_e32 v79, v44, v43
	s_waitcnt lgkmcnt(3)
	v_pk_add_f16 v77, v77, v33
	v_add_f16_e32 v108, v108, v78
	v_fmamk_f16 v111, v27, 0xb9fd, v26
	v_fma_f16 v112, v107, 0xb9fd, -v28
	v_add_f16_e32 v81, v81, v80
	v_pk_add_f16 v44, v77, v34
	v_mul_f16_e32 v78, 0xb3a8, v106
	v_mul_f16_e32 v80, 0xb3a8, v82
	v_add_f16_e32 v77, v111, v108
	v_add_f16_e32 v109, v112, v109
	s_waitcnt lgkmcnt(2)
	v_pk_add_f16 v113, v44, v37
	v_fmamk_f16 v111, v79, 0xbbc4, v78
	v_fma_f16 v112, v81, 0xbbc4, -v80
	v_add_f16_sdwa v43, v43, v11 dst_sel:DWORD dst_unused:UNUSED_PAD src0_sel:WORD_1 src1_sel:DWORD
	s_waitcnt lgkmcnt(0)
	v_pk_add_f16 v108, v32, v110 neg_lo:[0,1] neg_hi:[0,1]
	v_pk_add_f16 v11, v113, v38
	v_add_f16_e32 v44, v111, v77
	v_add_f16_e32 v77, v112, v109
	v_pk_add_f16 v109, v110, v32
	v_pk_mul_f16 v32, 0xb770, v108 op_sel_hi:[0,1]
	v_pk_add_f16 v112, v11, v41
	v_pk_add_f16 v134, v39, v42 neg_lo:[0,1] neg_hi:[0,1]
	v_mov_b32_e32 v114, 0x388b
	v_pk_add_f16 v137, v42, v39
	v_pk_fma_f16 v11, 0x3b15, v109, v32 op_sel:[0,0,1] op_sel_hi:[0,1,0]
	v_pk_fma_f16 v32, 0x3b15, v109, v32 op_sel:[0,0,1] op_sel_hi:[0,1,0] neg_lo:[0,0,1] neg_hi:[0,0,1]
	v_pk_add_f16 v112, v112, v42
	v_pk_mul_f16 v42, 0xba95, v134 op_sel_hi:[0,1]
	v_mov_b32_e32 v111, 0xba95
	v_mul_f16_sdwa v118, v109, v114 dst_sel:DWORD dst_unused:UNUSED_PAD src0_sel:WORD_1 src1_sel:DWORD
	v_bfi_b32 v115, 0xffff, v11, v32
	v_mov_b32_e32 v124, 0xb5ac
	v_pk_fma_f16 v39, 0x388b, v137, v42 op_sel:[0,0,1] op_sel_hi:[0,1,0]
	v_pk_fma_f16 v42, 0x388b, v137, v42 op_sel:[0,0,1] op_sel_hi:[0,1,0] neg_lo:[0,0,1] neg_hi:[0,0,1]
	v_mul_f16_sdwa v113, v108, v111 dst_sel:DWORD dst_unused:UNUSED_PAD src0_sel:WORD_1 src1_sel:DWORD
	v_pk_add_f16 v110, v112, v110
	v_pk_add_f16 v112, v31, v115
	v_fmamk_f16 v119, v108, 0x3a95, v118
	v_mov_b32_e32 v120, 0x2fb7
	v_mov_b32_e32 v123, 0xbb7b
	v_mul_f16_sdwa v139, v137, v124 dst_sel:DWORD dst_unused:UNUSED_PAD src0_sel:WORD_1 src1_sel:DWORD
	v_bfi_b32 v140, 0xffff, v39, v42
	v_fmamk_f16 v116, v109, 0x388b, v113
	v_mov_b32_e32 v117, 0xbbf1
	v_fma_f16 v113, v109, 0x388b, -v113
	v_fmac_f16_e32 v118, 0xba95, v108
	v_add_f16_sdwa v119, v31, v119 dst_sel:DWORD dst_unused:UNUSED_PAD src0_sel:WORD_1 src1_sel:DWORD
	v_mul_f16_sdwa v122, v109, v120 dst_sel:DWORD dst_unused:UNUSED_PAD src0_sel:WORD_1 src1_sel:DWORD
	v_mul_f16_sdwa v138, v134, v123 dst_sel:DWORD dst_unused:UNUSED_PAD src0_sel:WORD_1 src1_sel:DWORD
	v_fmamk_f16 v143, v134, 0x3b7b, v139
	v_pk_add_f16 v112, v140, v112
	v_mov_b32_e32 v140, 0xbbc4
	v_add_f16_e32 v115, v31, v116
	v_mul_f16_sdwa v116, v108, v117 dst_sel:DWORD dst_unused:UNUSED_PAD src0_sel:WORD_1 src1_sel:DWORD
	v_add_f16_e32 v113, v31, v113
	v_add_f16_sdwa v118, v31, v118 dst_sel:DWORD dst_unused:UNUSED_PAD src0_sel:WORD_1 src1_sel:DWORD
	v_fmamk_f16 v125, v108, 0x3bf1, v122
	v_mul_f16_sdwa v126, v108, v123 dst_sel:DWORD dst_unused:UNUSED_PAD src0_sel:WORD_1 src1_sel:DWORD
	v_fmamk_f16 v141, v137, 0xb5ac, v138
	v_mov_b32_e32 v142, 0xb3a8
	v_add_f16_e32 v119, v143, v119
	v_fma_f16 v138, v137, 0xb5ac, -v138
	v_fmac_f16_e32 v139, 0xbb7b, v134
	v_mul_f16_sdwa v143, v137, v140 dst_sel:DWORD dst_unused:UNUSED_PAD src0_sel:WORD_1 src1_sel:DWORD
	v_mov_b32_e32 v145, 0x394e
	v_fmamk_f16 v121, v109, 0x2fb7, v116
	v_add_f16_sdwa v125, v31, v125 dst_sel:DWORD dst_unused:UNUSED_PAD src0_sel:WORD_1 src1_sel:DWORD
	v_fmamk_f16 v128, v109, 0xb5ac, v126
	v_add_f16_e32 v115, v141, v115
	v_mul_f16_sdwa v141, v134, v142 dst_sel:DWORD dst_unused:UNUSED_PAD src0_sel:WORD_1 src1_sel:DWORD
	v_add_f16_e32 v113, v138, v113
	v_add_f16_e32 v118, v139, v118
	v_fmamk_f16 v138, v134, 0x33a8, v143
	v_mul_f16_sdwa v139, v134, v145 dst_sel:DWORD dst_unused:UNUSED_PAD src0_sel:WORD_1 src1_sel:DWORD
	v_add_f16_e32 v121, v31, v121
	v_fma_f16 v116, v109, 0x2fb7, -v116
	v_mul_f16_sdwa v127, v109, v124 dst_sel:DWORD dst_unused:UNUSED_PAD src0_sel:WORD_1 src1_sel:DWORD
	v_mov_b32_e32 v130, 0xb94e
	v_mov_b32_e32 v131, 0xb9fd
	v_fma_f16 v126, v109, 0xb5ac, -v126
	v_add_f16_e32 v128, v31, v128
	v_fmamk_f16 v144, v137, 0xbbc4, v141
	v_add_f16_e32 v125, v138, v125
	v_fmamk_f16 v138, v137, 0xb9fd, v139
	v_fmac_f16_e32 v122, 0xbbf1, v108
	v_add_f16_e32 v116, v31, v116
	v_fmamk_f16 v129, v108, 0x3b7b, v127
	v_mul_f16_sdwa v132, v108, v130 dst_sel:DWORD dst_unused:UNUSED_PAD src0_sel:WORD_1 src1_sel:DWORD
	v_add_f16_e32 v126, v31, v126
	v_add_f16_e32 v121, v144, v121
	v_fma_f16 v141, v137, 0xbbc4, -v141
	v_mul_f16_sdwa v144, v137, v131 dst_sel:DWORD dst_unused:UNUSED_PAD src0_sel:WORD_1 src1_sel:DWORD
	v_mov_b32_e32 v146, 0x3bf1
	v_add_f16_e32 v128, v138, v128
	v_fma_f16 v138, v137, 0xb9fd, -v139
	v_add_f16_sdwa v122, v31, v122 dst_sel:DWORD dst_unused:UNUSED_PAD src0_sel:WORD_1 src1_sel:DWORD
	v_add_f16_sdwa v129, v31, v129 dst_sel:DWORD dst_unused:UNUSED_PAD src0_sel:WORD_1 src1_sel:DWORD
	v_mul_f16_sdwa v133, v109, v131 dst_sel:DWORD dst_unused:UNUSED_PAD src0_sel:WORD_1 src1_sel:DWORD
	v_fmac_f16_e32 v127, 0xbb7b, v108
	v_fmamk_f16 v135, v109, 0xb9fd, v132
	v_fma_f16 v132, v109, 0xb9fd, -v132
	v_fmac_f16_e32 v143, 0xb3a8, v134
	v_add_f16_e32 v116, v141, v116
	v_fmamk_f16 v141, v134, 0xb94e, v144
	v_mul_f16_sdwa v139, v134, v146 dst_sel:DWORD dst_unused:UNUSED_PAD src0_sel:WORD_1 src1_sel:DWORD
	v_add_f16_e32 v126, v138, v126
	v_pk_add_f16 v138, v40, v41 neg_lo:[0,1] neg_hi:[0,1]
	v_fmamk_f16 v136, v108, 0x394e, v133
	v_add_f16_sdwa v127, v31, v127 dst_sel:DWORD dst_unused:UNUSED_PAD src0_sel:WORD_1 src1_sel:DWORD
	v_add_f16_e32 v135, v31, v135
	v_fmac_f16_e32 v133, 0xb94e, v108
	v_add_f16_e32 v132, v31, v132
	v_add_f16_e32 v122, v143, v122
	;; [unrolled: 1-line block ×3, first 2 shown]
	v_fmac_f16_e32 v144, 0x394e, v134
	v_mul_f16_sdwa v141, v137, v120 dst_sel:DWORD dst_unused:UNUSED_PAD src0_sel:WORD_1 src1_sel:DWORD
	v_fmamk_f16 v143, v137, 0x2fb7, v139
	v_pk_add_f16 v40, v41, v40
	v_pk_mul_f16 v41, 0xbbf1, v138 op_sel_hi:[0,1]
	v_fma_f16 v139, v137, 0x2fb7, -v139
	v_add_f16_sdwa v136, v31, v136 dst_sel:DWORD dst_unused:UNUSED_PAD src0_sel:WORD_1 src1_sel:DWORD
	v_add_f16_sdwa v133, v31, v133 dst_sel:DWORD dst_unused:UNUSED_PAD src0_sel:WORD_1 src1_sel:DWORD
	v_add_f16_e32 v127, v144, v127
	v_fmamk_f16 v144, v134, 0xbbf1, v141
	v_add_f16_e32 v135, v143, v135
	v_fmac_f16_e32 v141, 0x3bf1, v134
	v_pk_fma_f16 v143, 0x2fb7, v40, v41 op_sel:[0,0,1] op_sel_hi:[0,1,0]
	v_pk_fma_f16 v41, 0x2fb7, v40, v41 op_sel:[0,0,1] op_sel_hi:[0,1,0] neg_lo:[0,0,1] neg_hi:[0,0,1]
	v_add_f16_e32 v132, v139, v132
	v_mul_f16_sdwa v139, v138, v142 dst_sel:DWORD dst_unused:UNUSED_PAD src0_sel:WORD_1 src1_sel:DWORD
	v_mul_f16_sdwa v142, v40, v140 dst_sel:DWORD dst_unused:UNUSED_PAD src0_sel:WORD_1 src1_sel:DWORD
	v_add_f16_e32 v136, v144, v136
	v_add_f16_e32 v133, v141, v133
	v_bfi_b32 v141, 0xffff, v143, v41
	v_mov_b32_e32 v144, 0x3b7b
	v_fmamk_f16 v147, v40, 0xbbc4, v139
	v_fmamk_f16 v148, v138, 0x33a8, v142
	v_fma_f16 v139, v40, 0xbbc4, -v139
	v_pk_add_f16 v112, v141, v112
	v_mul_f16_sdwa v141, v138, v144 dst_sel:DWORD dst_unused:UNUSED_PAD src0_sel:WORD_1 src1_sel:DWORD
	v_add_f16_e32 v115, v147, v115
	v_add_f16_e32 v119, v148, v119
	v_fmac_f16_e32 v142, 0xb3a8, v138
	v_mul_f16_sdwa v147, v40, v124 dst_sel:DWORD dst_unused:UNUSED_PAD src0_sel:WORD_1 src1_sel:DWORD
	v_mov_b32_e32 v148, 0x3b15
	v_add_f16_e32 v113, v139, v113
	v_fmamk_f16 v139, v40, 0xb5ac, v141
	v_mov_b32_e32 v144, 0x3770
	v_add_f16_e32 v118, v142, v118
	v_fmamk_f16 v142, v138, 0xbb7b, v147
	v_mul_f16_sdwa v149, v40, v148 dst_sel:DWORD dst_unused:UNUSED_PAD src0_sel:WORD_1 src1_sel:DWORD
	v_add_f16_e32 v121, v139, v121
	v_mul_f16_sdwa v139, v138, v144 dst_sel:DWORD dst_unused:UNUSED_PAD src0_sel:WORD_1 src1_sel:DWORD
	v_fma_f16 v141, v40, 0xb5ac, -v141
	v_add_f16_e32 v125, v142, v125
	v_fmamk_f16 v142, v138, 0xb770, v149
	v_fmac_f16_e32 v147, 0x3b7b, v138
	v_fmamk_f16 v150, v40, 0x3b15, v139
	v_add_f16_e32 v116, v141, v116
	v_mul_f16_sdwa v141, v138, v111 dst_sel:DWORD dst_unused:UNUSED_PAD src0_sel:WORD_1 src1_sel:DWORD
	v_add_f16_e32 v129, v142, v129
	v_pk_add_f16 v142, v35, v38 neg_lo:[0,1] neg_hi:[0,1]
	v_add_f16_e32 v122, v147, v122
	v_add_f16_e32 v128, v150, v128
	v_fma_f16 v139, v40, 0x3b15, -v139
	v_fmamk_f16 v147, v40, 0x388b, v141
	v_mul_f16_sdwa v150, v40, v114 dst_sel:DWORD dst_unused:UNUSED_PAD src0_sel:WORD_1 src1_sel:DWORD
	v_pk_add_f16 v35, v38, v35
	v_pk_mul_f16 v38, 0xbb7b, v142 op_sel_hi:[0,1]
	v_fmac_f16_e32 v149, 0x3770, v138
	v_add_f16_e32 v126, v139, v126
	v_add_f16_e32 v135, v147, v135
	v_fmamk_f16 v139, v138, 0x3a95, v150
	v_pk_fma_f16 v147, 0xb5ac, v35, v38 op_sel:[0,0,1] op_sel_hi:[0,1,0]
	v_pk_fma_f16 v38, 0xb5ac, v35, v38 op_sel:[0,0,1] op_sel_hi:[0,1,0] neg_lo:[0,0,1] neg_hi:[0,0,1]
	v_mul_f16_sdwa v145, v142, v145 dst_sel:DWORD dst_unused:UNUSED_PAD src0_sel:WORD_1 src1_sel:DWORD
	v_fma_f16 v141, v40, 0x388b, -v141
	v_add_f16_e32 v127, v149, v127
	v_add_f16_e32 v136, v139, v136
	v_bfi_b32 v139, 0xffff, v147, v38
	v_fmamk_f16 v149, v35, 0xb9fd, v145
	v_add_f16_e32 v132, v141, v132
	v_mul_f16_sdwa v141, v35, v131 dst_sel:DWORD dst_unused:UNUSED_PAD src0_sel:WORD_1 src1_sel:DWORD
	v_fmac_f16_e32 v150, 0xba95, v138
	v_pk_add_f16 v112, v139, v112
	v_add_f16_e32 v115, v149, v115
	v_mul_f16_sdwa v139, v142, v144 dst_sel:DWORD dst_unused:UNUSED_PAD src0_sel:WORD_1 src1_sel:DWORD
	v_fmamk_f16 v149, v142, 0xb94e, v141
	v_fmac_f16_e32 v141, 0x394e, v142
	v_add_f16_e32 v133, v150, v133
	v_mul_f16_sdwa v150, v35, v148 dst_sel:DWORD dst_unused:UNUSED_PAD src0_sel:WORD_1 src1_sel:DWORD
	v_fma_f16 v145, v35, 0xb9fd, -v145
	v_fmamk_f16 v151, v35, 0x3b15, v139
	v_add_f16_e32 v118, v141, v118
	v_mul_f16_sdwa v117, v142, v117 dst_sel:DWORD dst_unused:UNUSED_PAD src0_sel:WORD_1 src1_sel:DWORD
	v_mul_f16_sdwa v141, v35, v120 dst_sel:DWORD dst_unused:UNUSED_PAD src0_sel:WORD_1 src1_sel:DWORD
	v_add_f16_e32 v119, v149, v119
	v_fmamk_f16 v149, v142, 0xb770, v150
	v_add_f16_e32 v113, v145, v113
	v_add_f16_e32 v121, v151, v121
	v_fmamk_f16 v145, v35, 0x2fb7, v117
	v_fmamk_f16 v151, v142, 0x3bf1, v141
	v_add_f16_e32 v125, v149, v125
	v_fma_f16 v139, v35, 0x3b15, -v139
	v_mov_b32_e32 v149, 0x33a8
	v_add_f16_e32 v128, v145, v128
	v_add_f16_e32 v129, v151, v129
	v_fma_f16 v117, v35, 0x2fb7, -v117
	v_pk_add_f16 v145, v36, v37 neg_lo:[0,1] neg_hi:[0,1]
	v_fmac_f16_e32 v141, 0xbbf1, v142
	v_mul_f16_sdwa v151, v35, v140 dst_sel:DWORD dst_unused:UNUSED_PAD src0_sel:WORD_1 src1_sel:DWORD
	v_fmac_f16_e32 v150, 0x3770, v142
	v_add_f16_e32 v116, v139, v116
	v_mul_f16_sdwa v139, v142, v149 dst_sel:DWORD dst_unused:UNUSED_PAD src0_sel:WORD_1 src1_sel:DWORD
	v_pk_add_f16 v36, v37, v36
	v_pk_mul_f16 v37, 0xb94e, v145 op_sel_hi:[0,1]
	v_add_f16_e32 v117, v117, v126
	v_add_f16_e32 v126, v141, v127
	v_fmamk_f16 v127, v142, 0xb3a8, v151
	v_add_f16_e32 v122, v150, v122
	v_fmamk_f16 v150, v35, 0xbbc4, v139
	v_pk_fma_f16 v141, 0xb9fd, v36, v37 op_sel:[0,0,1] op_sel_hi:[0,1,0]
	v_pk_fma_f16 v37, 0xb9fd, v36, v37 op_sel:[0,0,1] op_sel_hi:[0,1,0] neg_lo:[0,0,1] neg_hi:[0,0,1]
	v_fma_f16 v139, v35, 0xbbc4, -v139
	v_add_f16_e32 v127, v127, v136
	v_mul_f16_sdwa v136, v145, v146 dst_sel:DWORD dst_unused:UNUSED_PAD src0_sel:WORD_1 src1_sel:DWORD
	v_mul_f16_sdwa v120, v36, v120 dst_sel:DWORD dst_unused:UNUSED_PAD src0_sel:WORD_1 src1_sel:DWORD
	v_bfi_b32 v146, 0xffff, v141, v37
	v_add_f16_e32 v132, v139, v132
	v_mul_f16_sdwa v111, v145, v111 dst_sel:DWORD dst_unused:UNUSED_PAD src0_sel:WORD_1 src1_sel:DWORD
	v_fmamk_f16 v139, v36, 0x2fb7, v136
	v_fma_f16 v136, v36, 0x2fb7, -v136
	v_pk_add_f16 v112, v146, v112
	v_fmamk_f16 v146, v145, 0xbbf1, v120
	v_fmac_f16_e32 v120, 0x3bf1, v145
	v_add_f16_e32 v115, v139, v115
	v_fmamk_f16 v139, v36, 0x388b, v111
	v_add_f16_e32 v113, v136, v113
	v_mul_f16_sdwa v136, v36, v114 dst_sel:DWORD dst_unused:UNUSED_PAD src0_sel:WORD_1 src1_sel:DWORD
	v_add_f16_e32 v118, v120, v118
	v_add_f16_e32 v119, v146, v119
	;; [unrolled: 1-line block ×3, first 2 shown]
	v_mul_f16_sdwa v121, v145, v149 dst_sel:DWORD dst_unused:UNUSED_PAD src0_sel:WORD_1 src1_sel:DWORD
	v_mul_f16_sdwa v139, v36, v140 dst_sel:DWORD dst_unused:UNUSED_PAD src0_sel:WORD_1 src1_sel:DWORD
	v_fmamk_f16 v140, v145, 0x3a95, v136
	v_fma_f16 v111, v36, 0x388b, -v111
	v_fmac_f16_e32 v136, 0xba95, v145
	v_fmamk_f16 v146, v36, 0xbbc4, v121
	v_fmamk_f16 v149, v145, 0xb3a8, v139
	v_add_f16_e32 v125, v140, v125
	v_add_f16_e32 v111, v111, v116
	;; [unrolled: 1-line block ×5, first 2 shown]
	v_mul_f16_sdwa v129, v145, v144 dst_sel:DWORD dst_unused:UNUSED_PAD src0_sel:WORD_1 src1_sel:DWORD
	v_fma_f16 v121, v36, 0xbbc4, -v121
	v_pk_add_f16 v140, v33, v34 neg_lo:[0,1] neg_hi:[0,1]
	v_fmac_f16_e32 v139, 0x33a8, v145
	v_pk_add_f16 v33, v34, v33
	v_fmamk_f16 v146, v36, 0x3b15, v129
	v_add_f16_e32 v117, v121, v117
	v_fma_f16 v129, v36, 0x3b15, -v129
	v_add_f16_e32 v121, v139, v126
	v_mul_f16_sdwa v139, v140, v144 dst_sel:DWORD dst_unused:UNUSED_PAD src0_sel:WORD_1 src1_sel:DWORD
	v_mul_f16_sdwa v144, v33, v148 dst_sel:DWORD dst_unused:UNUSED_PAD src0_sel:WORD_1 src1_sel:DWORD
	v_add_f16_e32 v135, v150, v135
	v_pk_mul_f16 v34, 0xb3a8, v140 op_sel_hi:[0,1]
	v_add_f16_e32 v129, v129, v132
	v_mul_f16_sdwa v130, v140, v130 dst_sel:DWORD dst_unused:UNUSED_PAD src0_sel:WORD_1 src1_sel:DWORD
	v_fmamk_f16 v132, v140, 0xb770, v144
	v_fmac_f16_e32 v151, 0x33a8, v142
	v_mul_f16_sdwa v136, v36, v148 dst_sel:DWORD dst_unused:UNUSED_PAD src0_sel:WORD_1 src1_sel:DWORD
	v_add_f16_e32 v126, v146, v135
	v_pk_fma_f16 v135, 0xbbc4, v33, v34 op_sel:[0,0,1] op_sel_hi:[0,1,0]
	v_pk_fma_f16 v34, 0xbbc4, v33, v34 op_sel:[0,0,1] op_sel_hi:[0,1,0] neg_lo:[0,0,1] neg_hi:[0,0,1]
	v_fmamk_f16 v148, v33, 0x3b15, v139
	v_add_f16_e32 v119, v132, v119
	v_fma_f16 v132, v33, 0x3b15, -v139
	v_fmamk_f16 v139, v33, 0xb9fd, v130
	v_fma_f16 v130, v33, 0xb9fd, -v130
	v_mul_f16_sdwa v114, v33, v114 dst_sel:DWORD dst_unused:UNUSED_PAD src0_sel:WORD_1 src1_sel:DWORD
	v_add_f16_e32 v133, v151, v133
	v_fmamk_f16 v149, v145, 0xb770, v136
	v_fmac_f16_e32 v136, 0x3770, v145
	v_bfi_b32 v146, 0xffff, v135, v34
	v_add_f16_e32 v111, v130, v111
	v_fmamk_f16 v130, v140, 0xba95, v114
	v_fmac_f16_e32 v114, 0x3a95, v140
	v_mul_f16_sdwa v123, v140, v123 dst_sel:DWORD dst_unused:UNUSED_PAD src0_sel:WORD_1 src1_sel:DWORD
	v_mul_f16_sdwa v124, v33, v124 dst_sel:DWORD dst_unused:UNUSED_PAD src0_sel:WORD_1 src1_sel:DWORD
	v_add_f16_e32 v127, v149, v127
	v_add_f16_e32 v133, v136, v133
	v_pk_add_f16 v112, v146, v112
	v_mov_b32_e32 v136, 0x3a95
	v_mul_f16_sdwa v131, v33, v131 dst_sel:DWORD dst_unused:UNUSED_PAD src0_sel:WORD_1 src1_sel:DWORD
	v_add_f16_e32 v128, v130, v128
	v_add_f16_e32 v114, v114, v121
	v_fmamk_f16 v121, v33, 0xb5ac, v123
	v_fmamk_f16 v130, v140, 0x3b7b, v124
	v_pk_mul_f16 v109, 0xbbc4, v109 op_sel_hi:[0,1]
	s_barrier
	buffer_gl0_inv
	v_add_f16_e32 v113, v132, v113
	v_mul_f16_sdwa v132, v140, v136 dst_sel:DWORD dst_unused:UNUSED_PAD src0_sel:WORD_1 src1_sel:DWORD
	v_fmamk_f16 v136, v140, 0x394e, v131
	v_add_f16_e32 v121, v121, v126
	v_add_f16_e32 v126, v130, v127
	v_pk_fma_f16 v127, 0xb3a8, v108, v109 op_sel:[0,0,1] op_sel_hi:[0,1,0]
	ds_write2_b32 v76, v110, v112 offset1:1
	v_pk_mul_f16 v110, 0x3b15, v137 op_sel_hi:[0,1]
	v_add_f16_e32 v115, v148, v115
	v_add_f16_e32 v120, v139, v120
	;; [unrolled: 1-line block ×3, first 2 shown]
	v_fma_f16 v123, v33, 0xb5ac, -v123
	v_alignbit_b32 v112, s0, v127, 16
	v_pk_fma_f16 v108, 0xb3a8, v108, v109 op_sel:[0,0,1] op_sel_hi:[0,1,0] neg_lo:[0,1,0] neg_hi:[0,1,0]
	v_pk_fma_f16 v109, 0x3770, v134, v110 op_sel:[0,0,1] op_sel_hi:[0,1,0]
	v_pk_mul_f16 v40, 0xb9fd, v40 op_sel_hi:[0,1]
	v_add_f16_e32 v123, v123, v129
	v_pack_b32_f16 v120, v120, v125
	v_pack_b32_f16 v115, v115, v119
	v_pk_add_f16 v112, v31, v112
	v_alignbit_b32 v119, s0, v31, 16
	v_pk_add_f16 v108, v31, v108 op_sel:[1,0] op_sel_hi:[0,1]
	v_alignbit_b32 v125, s0, v109, 16
	v_pk_fma_f16 v110, 0x3770, v134, v110 op_sel:[0,0,1] op_sel_hi:[0,1,0] neg_lo:[0,1,0] neg_hi:[0,1,0]
	v_pk_fma_f16 v129, 0xb94e, v138, v40 op_sel:[0,0,1] op_sel_hi:[0,1,0]
	v_pk_mul_f16 v35, 0x388b, v35 op_sel_hi:[0,1]
	v_bfi_b32 v11, 0xffff, v32, v11
	v_pk_add_f16 v119, v119, v127
	v_pk_add_f16 v112, v125, v112
	;; [unrolled: 1-line block ×3, first 2 shown]
	v_alignbit_b32 v110, s0, v129, 16
	v_pk_fma_f16 v40, 0xb94e, v138, v40 op_sel:[0,0,1] op_sel_hi:[0,1,0] neg_lo:[0,1,0] neg_hi:[0,1,0]
	v_pk_fma_f16 v125, 0x3a95, v142, v35 op_sel:[0,0,1] op_sel_hi:[0,1,0]
	v_pk_mul_f16 v36, 0xb5ac, v36 op_sel_hi:[0,1]
	v_pk_add_f16 v11, v31, v11
	v_bfi_b32 v31, 0xffff, v42, v39
	v_fmac_f16_e32 v131, 0xb94e, v140
	v_pk_add_f16 v109, v109, v119
	v_pk_add_f16 v110, v110, v112
	;; [unrolled: 1-line block ×3, first 2 shown]
	v_alignbit_b32 v108, s0, v125, 16
	v_pk_fma_f16 v35, 0x3a95, v142, v35 op_sel:[0,0,1] op_sel_hi:[0,1,0] neg_lo:[0,1,0] neg_hi:[0,1,0]
	v_pk_fma_f16 v112, 0xbb7b, v145, v36 op_sel:[0,0,1] op_sel_hi:[0,1,0]
	v_pk_add_f16 v11, v31, v11
	v_bfi_b32 v31, 0xffff, v41, v143
	v_fmamk_f16 v139, v33, 0x388b, v132
	v_add_f16_e32 v116, v131, v116
	v_fma_f16 v131, v33, 0x388b, -v132
	v_pk_add_f16 v109, v129, v109
	v_pk_add_f16 v32, v108, v110
	;; [unrolled: 1-line block ×3, first 2 shown]
	v_alignbit_b32 v40, s0, v112, 16
	v_pk_mul_f16 v33, 0x2fb7, v33 op_sel_hi:[0,1]
	v_pk_add_f16 v11, v31, v11
	v_bfi_b32 v31, 0xffff, v38, v147
	v_pk_add_f16 v39, v125, v109
	v_pk_fma_f16 v36, 0xbb7b, v145, v36 op_sel:[0,0,1] op_sel_hi:[0,1,0] neg_lo:[0,1,0] neg_hi:[0,1,0]
	v_pk_add_f16 v32, v40, v32
	v_pk_fma_f16 v40, 0x3bf1, v140, v33 op_sel:[0,0,1] op_sel_hi:[0,1,0]
	v_pk_add_f16 v11, v31, v11
	v_bfi_b32 v31, 0xffff, v37, v141
	v_pk_add_f16 v35, v36, v35
	v_pk_add_f16 v36, v112, v39
	v_alignbit_b32 v39, s0, v40, 16
	v_pk_fma_f16 v33, 0x3bf1, v140, v33 op_sel:[0,0,1] op_sel_hi:[0,1,0] neg_lo:[0,1,0] neg_hi:[0,1,0]
	v_fmac_f16_e32 v124, 0xbb7b, v140
	v_fmac_f16_e32 v144, 0x3770, v140
	v_add_f16_e32 v122, v139, v122
	v_pk_add_f16 v11, v31, v11
	v_bfi_b32 v31, 0xffff, v34, v135
	v_pk_add_f16 v32, v39, v32
	v_pk_add_f16 v33, v33, v35
	;; [unrolled: 1-line block ×3, first 2 shown]
	v_add_f16_e32 v117, v131, v117
	v_add_f16_e32 v124, v124, v133
	;; [unrolled: 1-line block ×3, first 2 shown]
	v_pack_b32_f16 v36, v121, v126
	v_pack_b32_f16 v37, v122, v128
	v_pk_add_f16 v11, v31, v11
	v_alignbit_b32 v35, v35, v33, 16
	v_pack_b32_f16 v32, v32, v33
	v_pack_b32_f16 v33, v117, v114
	;; [unrolled: 1-line block ×5, first 2 shown]
	ds_write2_b32 v76, v115, v120 offset0:2 offset1:3
	ds_write2_b32 v76, v37, v36 offset0:4 offset1:5
	;; [unrolled: 1-line block ×5, first 2 shown]
	ds_write_b32 v76, v11 offset:48
	s_and_saveexec_b32 s1, vcc_lo
	s_cbranch_execz .LBB0_17
; %bb.16:
	v_mul_f16_e32 v76, 0xbbc4, v103
	v_mul_f16_e32 v108, 0x3b15, v100
	;; [unrolled: 1-line block ×5, first 2 shown]
	v_fmamk_f16 v40, v94, 0x33a8, v76
	v_fmamk_f16 v110, v95, 0xb770, v108
	v_mul_f16_e32 v109, 0xb3a8, v98
	v_mul_f16_e32 v119, 0x2fb7, v81
	;; [unrolled: 1-line block ×3, first 2 shown]
	v_add_f16_e32 v42, v88, v40
	v_mul_f16_e32 v121, 0xb9fd, v103
	v_fmamk_f16 v112, v90, 0xbbc4, v109
	v_mul_f16_e32 v116, 0xb94e, v102
	v_fmamk_f16 v115, v30, 0x3b15, v113
	v_add_f16_e32 v42, v110, v42
	v_fmamk_f16 v110, v96, 0x394e, v111
	v_add_f16_e32 v112, v29, v112
	v_mul_f16_e32 v123, 0x2fb7, v100
	v_mul_f16_e32 v118, 0x3a95, v105
	;; [unrolled: 1-line block ×3, first 2 shown]
	v_add_f16_e32 v42, v110, v42
	v_fmamk_f16 v110, v97, 0xba95, v114
	v_add_f16_e32 v112, v115, v112
	v_fmamk_f16 v115, v83, 0xb9fd, v116
	v_fmamk_f16 v125, v95, 0xbbf1, v123
	v_mul_f16_e32 v120, 0xbb7b, v87
	v_add_f16_e32 v42, v110, v42
	v_fmamk_f16 v110, v84, 0x3b7b, v117
	v_add_f16_e32 v112, v115, v112
	v_fmamk_f16 v115, v85, 0x388b, v118
	v_mul_f16_e32 v130, 0xbbc4, v104
	v_mul_f16_e32 v133, 0x3b15, v107
	v_add_f16_e32 v42, v110, v42
	v_fmamk_f16 v110, v82, 0xbbf1, v119
	v_add_f16_e32 v112, v115, v112
	v_fmamk_f16 v115, v27, 0xb5ac, v120
	v_mul_f16_e32 v124, 0xb94e, v98
	v_mul_f16_e32 v135, 0xb5ac, v81
	v_add_f16_e32 v42, v110, v42
	v_fmamk_f16 v110, v94, 0x394e, v121
	v_add_f16_e32 v112, v115, v112
	v_mul_f16_e32 v115, 0x3bf1, v106
	v_fmamk_f16 v128, v90, 0xb9fd, v124
	v_mul_f16_e32 v129, 0x3bf1, v99
	v_add_f16_e32 v110, v88, v110
	v_mul_f16_e32 v137, 0xb5ac, v103
	v_fmamk_f16 v127, v79, 0x2fb7, v115
	v_add_f16_e32 v128, v29, v128
	v_fmamk_f16 v131, v30, 0x2fb7, v129
	v_add_f16_e32 v110, v125, v110
	v_fmamk_f16 v125, v96, 0x3a95, v126
	v_mul_f16_e32 v132, 0xba95, v102
	v_add_f16_e32 v112, v127, v112
	v_mul_f16_e32 v127, 0xb9fd, v100
	v_mul_f16_e32 v138, 0xbb7b, v98
	v_add_f16_e32 v110, v125, v110
	v_fmamk_f16 v125, v97, 0xb3a8, v130
	v_add_f16_e32 v128, v131, v128
	v_fmamk_f16 v131, v83, 0x388b, v132
	v_mul_f16_e32 v134, 0x33a8, v105
	v_fmamk_f16 v139, v95, 0xb94e, v127
	v_add_f16_e32 v110, v125, v110
	v_fmamk_f16 v125, v84, 0xb770, v133
	v_mul_f16_e32 v140, 0x3b15, v101
	v_fmamk_f16 v142, v90, 0xb5ac, v138
	v_mul_f16_e32 v143, 0x394e, v99
	v_add_f16_e32 v128, v131, v128
	v_add_f16_e32 v110, v125, v110
	v_fmamk_f16 v125, v82, 0x3b7b, v135
	v_fmamk_f16 v131, v85, 0xbbc4, v134
	v_mul_f16_e32 v136, 0x3770, v87
	v_mul_f16_e32 v144, 0x2fb7, v104
	v_add_f16_e32 v142, v29, v142
	v_add_f16_e32 v110, v125, v110
	v_fmamk_f16 v125, v94, 0x3b7b, v137
	v_fmamk_f16 v145, v30, 0xb9fd, v143
	v_mul_f16_e32 v146, 0x3770, v102
	v_add_f16_e32 v128, v131, v128
	v_fmamk_f16 v131, v27, 0x3b15, v136
	v_add_f16_e32 v125, v88, v125
	v_mul_f16_e32 v147, 0xbbc4, v107
	v_add_f16_e32 v142, v145, v142
	v_fmamk_f16 v145, v83, 0x3b15, v146
	v_mul_f16_e32 v148, 0xbbf1, v105
	v_add_f16_e32 v125, v139, v125
	v_fmamk_f16 v139, v96, 0xb770, v140
	v_add_f16_e32 v128, v131, v128
	v_mul_f16_e32 v131, 0xbb7b, v106
	v_add_f16_e32 v142, v145, v142
	v_fmamk_f16 v145, v85, 0x2fb7, v148
	v_add_f16_e32 v125, v139, v125
	v_fmamk_f16 v139, v97, 0x3bf1, v144
	v_mul_f16_e32 v150, 0x33a8, v87
	v_fmamk_f16 v141, v79, 0xb5ac, v131
	v_mul_f16_e32 v149, 0x388b, v81
	v_add_f16_e32 v142, v145, v142
	v_add_f16_e32 v125, v139, v125
	v_fmamk_f16 v139, v84, 0xb3a8, v147
	v_fmamk_f16 v145, v27, 0xbbc4, v150
	;; [unrolled: 1-line block ×3, first 2 shown]
	v_add_f16_e32 v128, v141, v128
	v_mul_f16_e32 v152, 0xbbc4, v100
	v_add_f16_e32 v125, v139, v125
	v_mul_f16_e32 v139, 0x2fb7, v103
	;; [unrolled: 2-line block ×3, first 2 shown]
	v_fmac_f16_e32 v76, 0xb3a8, v94
	v_fma_f16 v109, v90, 0xbbc4, -v109
	v_fmamk_f16 v141, v94, 0x3bf1, v139
	v_fmac_f16_e32 v121, 0xb94e, v94
	v_add_f16_e32 v125, v151, v125
	v_fmamk_f16 v151, v95, 0x33a8, v152
	v_mul_f16_e32 v153, 0xb5ac, v101
	v_add_f16_e32 v141, v88, v141
	v_fmamk_f16 v155, v90, 0x2fb7, v145
	v_mul_f16_e32 v156, 0xb3a8, v99
	v_add_f16_e32 v76, v88, v76
	v_fmac_f16_e32 v108, 0x3770, v95
	v_add_f16_e32 v109, v29, v109
	v_fma_f16 v113, v30, 0x3b15, -v113
	v_add_f16_e32 v121, v88, v121
	v_fmac_f16_e32 v123, 0x3bf1, v95
	v_add_f16_e32 v141, v151, v141
	v_fmamk_f16 v151, v96, 0xbb7b, v153
	v_mul_f16_e32 v157, 0x3b15, v104
	v_add_f16_e32 v155, v29, v155
	v_fmamk_f16 v158, v30, 0xbbc4, v156
	v_mul_f16_e32 v159, 0x3b7b, v102
	v_add_f16_e32 v76, v108, v76
	v_fmac_f16_e32 v111, 0xb94e, v96
	v_add_f16_e32 v108, v113, v109
	v_fma_f16 v109, v83, 0xb9fd, -v116
	v_add_f16_e32 v113, v123, v121
	v_fmac_f16_e32 v126, 0xba95, v96
	v_add_f16_e32 v141, v151, v141
	v_fmamk_f16 v151, v97, 0xb770, v157
	v_mul_f16_e32 v160, 0x388b, v107
	v_add_f16_e32 v155, v158, v155
	v_fmamk_f16 v158, v83, 0xb5ac, v159
	v_mul_f16_e32 v161, 0x3770, v105
	v_add_f16_e32 v76, v111, v76
	v_add_f16_e32 v108, v109, v108
	v_fma_f16 v109, v85, 0x388b, -v118
	v_add_f16_e32 v111, v126, v113
	v_fmac_f16_e32 v130, 0x33a8, v97
	v_add_f16_e32 v141, v151, v141
	v_fmamk_f16 v151, v84, 0x3a95, v160
	v_mul_f16_e32 v162, 0xb9fd, v81
	v_add_f16_e32 v155, v158, v155
	v_fmamk_f16 v158, v85, 0x3b15, v161
	v_mul_f16_e32 v163, 0xba95, v87
	v_add_f16_e32 v108, v109, v108
	v_fma_f16 v109, v27, 0xb5ac, -v120
	v_add_f16_e32 v111, v130, v111
	v_fmac_f16_e32 v133, 0x3770, v84
	v_mul_f16_e32 v41, 0x3b15, v103
	v_add_f16_e32 v141, v151, v141
	v_fmamk_f16 v151, v82, 0x394e, v162
	v_add_f16_e32 v155, v158, v155
	v_fmamk_f16 v158, v27, 0x388b, v163
	v_mul_f16_e32 v103, 0x388b, v103
	v_fmac_f16_e32 v114, 0x3a95, v97
	v_add_f16_e32 v108, v109, v108
	v_fma_f16 v109, v79, 0x2fb7, -v115
	v_add_f16_e32 v111, v133, v111
	v_fmac_f16_e32 v135, 0xbb7b, v82
	v_fma_f16 v113, v90, 0xb9fd, -v124
	v_fmac_f16_e32 v137, 0xbb7b, v94
	v_fmac_f16_e32 v139, 0xbbf1, v94
	v_mul_f16_e32 v34, 0x388b, v100
	v_add_f16_e32 v141, v151, v141
	v_add_f16_e32 v151, v158, v155
	v_fmamk_f16 v155, v94, 0x3a95, v103
	v_mul_f16_e32 v100, 0xb5ac, v100
	v_add_f16_e32 v76, v114, v76
	v_add_f16_e32 v108, v109, v108
	;; [unrolled: 1-line block ×3, first 2 shown]
	v_fma_f16 v111, v90, 0xb5ac, -v138
	v_add_f16_e32 v113, v29, v113
	v_fma_f16 v114, v30, 0x2fb7, -v129
	v_add_f16_e32 v115, v88, v137
	v_fmac_f16_e32 v127, 0x394e, v95
	v_fmac_f16_e32 v103, 0xba95, v94
	v_add_f16_e32 v94, v88, v139
	v_fmac_f16_e32 v152, 0xb3a8, v95
	v_mul_f16_e32 v39, 0x2fb7, v101
	v_add_f16_e32 v155, v88, v155
	v_fmamk_f16 v165, v95, 0x3b7b, v100
	v_mul_f16_e32 v101, 0xbbc4, v101
	v_add_f16_e32 v111, v29, v111
	v_fma_f16 v116, v30, 0xb9fd, -v143
	v_add_f16_e32 v113, v114, v113
	v_fma_f16 v114, v83, 0x388b, -v132
	v_add_f16_e32 v115, v127, v115
	v_fmac_f16_e32 v140, 0x3770, v96
	v_add_f16_e32 v94, v152, v94
	v_fmac_f16_e32 v153, 0x3b7b, v96
	v_mul_f16_e32 v154, 0x3a95, v106
	v_mul_f16_e32 v37, 0xb5ac, v104
	v_add_f16_e32 v155, v165, v155
	v_fmamk_f16 v165, v96, 0x33a8, v101
	v_mul_f16_e32 v104, 0xb9fd, v104
	v_add_f16_e32 v111, v116, v111
	v_fma_f16 v116, v83, 0x3b15, -v146
	v_add_f16_e32 v113, v114, v113
	v_fma_f16 v114, v85, 0xbbc4, -v134
	v_add_f16_e32 v115, v140, v115
	v_fmac_f16_e32 v144, 0xbbf1, v97
	v_add_f16_e32 v94, v153, v94
	v_fmac_f16_e32 v157, 0x3770, v97
	v_fmamk_f16 v164, v79, 0x388b, v154
	v_mul_f16_e32 v98, 0xba95, v98
	v_mul_f16_e32 v35, 0xb9fd, v107
	v_add_f16_e32 v155, v165, v155
	v_fmamk_f16 v165, v97, 0xb94e, v104
	v_mul_f16_e32 v107, 0x2fb7, v107
	v_add_f16_e32 v111, v116, v111
	v_fma_f16 v116, v85, 0x2fb7, -v148
	v_add_f16_e32 v113, v114, v113
	v_fma_f16 v114, v27, 0x3b15, -v136
	v_add_f16_e32 v115, v144, v115
	v_fmac_f16_e32 v147, 0x33a8, v84
	v_add_f16_e32 v94, v157, v94
	v_fmac_f16_e32 v160, 0xba95, v84
	v_add_f16_e32 v142, v164, v142
	v_fmamk_f16 v164, v90, 0x388b, v98
	v_mul_f16_e32 v99, 0xbb7b, v99
	v_mul_f16_e32 v122, 0xbbc4, v81
	v_add_f16_e32 v155, v165, v155
	v_fmamk_f16 v165, v84, 0xbbf1, v107
	v_mul_f16_e32 v81, 0x3b15, v81
	v_fmac_f16_e32 v117, 0xbb7b, v84
	v_add_f16_e32 v111, v116, v111
	v_fma_f16 v116, v27, 0xbbc4, -v150
	v_add_f16_e32 v113, v114, v113
	v_fma_f16 v114, v79, 0xb5ac, -v131
	v_add_f16_e32 v115, v147, v115
	v_fmac_f16_e32 v149, 0x3a95, v82
	v_fmac_f16_e32 v107, 0x3bf1, v84
	v_add_f16_e32 v84, v160, v94
	v_fmac_f16_e32 v162, 0xb94e, v82
	v_mul_f16_e32 v36, 0x3b15, v90
	v_add_f16_e32 v164, v29, v164
	v_fmamk_f16 v166, v30, 0xb5ac, v99
	v_mul_f16_e32 v102, 0xb3a8, v102
	v_add_f16_e32 v155, v165, v155
	v_fmamk_f16 v165, v82, 0xb770, v81
	v_fmac_f16_e32 v119, 0x3bf1, v82
	v_add_f16_e32 v111, v116, v111
	v_fma_f16 v116, v79, 0x388b, -v154
	v_add_f16_e32 v113, v114, v113
	v_add_f16_e32 v114, v149, v115
	v_fma_f16 v115, v90, 0x2fb7, -v145
	v_fmac_f16_e32 v81, 0x3770, v82
	v_add_f16_e32 v82, v162, v84
	v_fma_f16 v84, v90, 0x388b, -v98
	v_mul_f16_e32 v31, 0x388b, v30
	v_add_f16_e32 v41, v93, v41
	v_sub_f16_e32 v36, v36, v91
	v_add_f16_e32 v164, v166, v164
	v_fmamk_f16 v166, v83, 0xbbc4, v102
	v_mul_f16_e32 v105, 0x394e, v105
	v_add_f16_e32 v111, v116, v111
	v_add_f16_e32 v115, v29, v115
	v_fma_f16 v116, v30, 0xbbc4, -v156
	v_add_f16_e32 v103, v88, v103
	v_fmac_f16_e32 v100, 0xbb7b, v95
	v_add_f16_e32 v84, v29, v84
	v_fma_f16 v30, v30, 0xb5ac, -v99
	v_mul_f16_e32 v38, 0x2fb7, v83
	v_add_f16_e32 v41, v88, v41
	v_add_f16_e32 v34, v92, v34
	;; [unrolled: 1-line block ×3, first 2 shown]
	v_sub_f16_e32 v31, v31, v86
	v_add_f16_e32 v164, v166, v164
	v_fmamk_f16 v166, v85, 0xb9fd, v105
	v_mul_f16_e32 v87, 0x3bf1, v87
	v_add_f16_e32 v95, v116, v115
	v_fma_f16 v115, v83, 0xb5ac, -v159
	v_add_f16_e32 v100, v100, v103
	v_fmac_f16_e32 v101, 0xb3a8, v96
	v_add_f16_e32 v30, v30, v84
	v_fma_f16 v36, v83, 0xbbc4, -v102
	v_mul_f16_e32 v33, 0xb5ac, v85
	v_add_f16_e32 v34, v34, v41
	v_add_f16_e32 v39, v89, v39
	;; [unrolled: 1-line block ×3, first 2 shown]
	v_sub_f16_e32 v25, v38, v25
	v_mul_f16_e32 v158, 0xb94e, v106
	v_add_f16_e32 v164, v166, v164
	v_fmamk_f16 v166, v27, 0x2fb7, v87
	v_mul_f16_e32 v106, 0x3770, v106
	v_add_f16_e32 v95, v115, v95
	v_fma_f16 v96, v85, 0x3b15, -v161
	v_add_f16_e32 v100, v101, v100
	v_fmac_f16_e32 v104, 0x394e, v97
	v_add_f16_e32 v30, v36, v30
	v_fma_f16 v31, v85, 0xb9fd, -v105
	v_mul_f16_e32 v32, 0xb9fd, v27
	v_add_f16_e32 v34, v39, v34
	v_add_f16_e32 v14, v14, v37
	;; [unrolled: 1-line block ×3, first 2 shown]
	v_sub_f16_e32 v13, v33, v13
	v_fmamk_f16 v167, v79, 0xb9fd, v158
	v_add_f16_e32 v164, v166, v164
	v_fmamk_f16 v166, v79, 0x3b15, v106
	v_add_f16_e32 v95, v96, v95
	v_fma_f16 v96, v27, 0x388b, -v163
	v_add_f16_e32 v97, v104, v100
	v_add_f16_e32 v29, v31, v30
	v_fma_f16 v27, v27, 0x2fb7, -v87
	v_mul_f16_e32 v40, 0xbbc4, v79
	v_add_f16_e32 v14, v14, v34
	v_add_f16_e32 v28, v28, v35
	;; [unrolled: 1-line block ×3, first 2 shown]
	v_sub_f16_e32 v25, v32, v26
	v_add_f16_e32 v76, v117, v76
	v_add_f16_e32 v151, v167, v151
	;; [unrolled: 1-line block ×5, first 2 shown]
	v_fma_f16 v95, v79, 0xb9fd, -v158
	v_add_f16_e32 v96, v107, v97
	v_add_f16_e32 v26, v27, v29
	v_fma_f16 v27, v79, 0x3b15, -v106
	v_add_f16_e32 v14, v28, v14
	v_add_f16_e32 v28, v80, v122
	;; [unrolled: 1-line block ×3, first 2 shown]
	v_sub_f16_e32 v25, v40, v78
	v_add_f16_e32 v76, v119, v76
	v_lshl_add_u32 v29, v64, 2, v60
	v_perm_b32 v30, v77, v44, 0x5040100
	v_perm_b32 v31, v43, v12, 0x5040100
	v_pack_b32_f16 v32, v151, v141
	v_pack_b32_f16 v33, v164, v155
	v_add_f16_e32 v90, v95, v94
	v_add_f16_e32 v81, v81, v96
	;; [unrolled: 1-line block ×5, first 2 shown]
	v_pack_b32_f16 v25, v128, v110
	v_pack_b32_f16 v27, v142, v125
	ds_write2_b32 v29, v31, v30 offset1:1
	ds_write2_b32 v29, v33, v32 offset0:2 offset1:3
	v_pack_b32_f16 v28, v108, v76
	v_pack_b32_f16 v30, v112, v42
	;; [unrolled: 1-line block ×7, first 2 shown]
	ds_write2_b32 v29, v27, v25 offset0:4 offset1:5
	ds_write2_b32 v29, v30, v28 offset0:6 offset1:7
	;; [unrolled: 1-line block ×4, first 2 shown]
	ds_write_b32 v29, v13 offset:48
.LBB0_17:
	s_or_b32 exec_lo, exec_lo, s1
	v_add_nc_u32_e32 v27, 0x400, v45
	s_waitcnt lgkmcnt(0)
	s_barrier
	buffer_gl0_inv
	ds_read2_b32 v[25:26], v45 offset1:39
	ds_read2_b32 v[33:34], v45 offset0:182 offset1:221
	ds_read2_b32 v[31:32], v27 offset0:108 offset1:147
	ds_read2_b32 v[13:14], v45 offset0:78 offset1:117
	ds_read2_b32 v[29:30], v27 offset0:4 offset1:43
	ds_read2_b32 v[27:28], v27 offset0:186 offset1:225
	v_lshrrev_b32_e32 v37, 16, v11
	s_and_saveexec_b32 s1, s0
	s_cbranch_execz .LBB0_19
; %bb.18:
	v_add_nc_u32_e32 v11, 0x200, v45
	ds_read2_b32 v[11:12], v11 offset0:28 offset1:210
	ds_read_b32 v44, v45 offset:2080
	s_waitcnt lgkmcnt(1)
	v_lshrrev_b32_e32 v37, 16, v11
	v_lshrrev_b32_e32 v43, 16, v12
	s_waitcnt lgkmcnt(0)
	v_lshrrev_b32_e32 v77, 16, v44
.LBB0_19:
	s_or_b32 exec_lo, exec_lo, s1
	s_waitcnt lgkmcnt(4)
	v_lshrrev_b32_e32 v39, 16, v33
	s_waitcnt lgkmcnt(3)
	v_lshrrev_b32_e32 v40, 16, v31
	v_lshrrev_b32_e32 v42, 16, v34
	v_mul_f16_sdwa v83, v23, v33 dst_sel:DWORD dst_unused:UNUSED_PAD src0_sel:WORD_1 src1_sel:DWORD
	v_lshrrev_b32_e32 v64, 16, v32
	v_mul_f16_sdwa v81, v23, v39 dst_sel:DWORD dst_unused:UNUSED_PAD src0_sel:WORD_1 src1_sel:DWORD
	v_mul_f16_sdwa v85, v24, v40 dst_sel:DWORD dst_unused:UNUSED_PAD src0_sel:WORD_1 src1_sel:DWORD
	s_waitcnt lgkmcnt(1)
	v_lshrrev_b32_e32 v78, 16, v29
	s_waitcnt lgkmcnt(0)
	v_lshrrev_b32_e32 v79, 16, v27
	v_lshrrev_b32_e32 v82, 16, v30
	v_fmac_f16_e32 v81, v23, v33
	v_mul_f16_sdwa v33, v24, v31 dst_sel:DWORD dst_unused:UNUSED_PAD src0_sel:WORD_1 src1_sel:DWORD
	v_fma_f16 v23, v23, v39, -v83
	v_mul_f16_sdwa v39, v19, v42 dst_sel:DWORD dst_unused:UNUSED_PAD src0_sel:WORD_1 src1_sel:DWORD
	v_fmac_f16_e32 v85, v24, v31
	v_mul_f16_sdwa v31, v19, v34 dst_sel:DWORD dst_unused:UNUSED_PAD src0_sel:WORD_1 src1_sel:DWORD
	v_fma_f16 v24, v24, v40, -v33
	v_mul_f16_sdwa v33, v20, v64 dst_sel:DWORD dst_unused:UNUSED_PAD src0_sel:WORD_1 src1_sel:DWORD
	v_fmac_f16_e32 v39, v19, v34
	v_mul_f16_sdwa v34, v20, v32 dst_sel:DWORD dst_unused:UNUSED_PAD src0_sel:WORD_1 src1_sel:DWORD
	v_fma_f16 v19, v19, v42, -v31
	v_mul_f16_sdwa v31, v17, v78 dst_sel:DWORD dst_unused:UNUSED_PAD src0_sel:WORD_1 src1_sel:DWORD
	v_fmac_f16_e32 v33, v20, v32
	v_mul_f16_sdwa v32, v17, v29 dst_sel:DWORD dst_unused:UNUSED_PAD src0_sel:WORD_1 src1_sel:DWORD
	v_fma_f16 v20, v20, v64, -v34
	v_mul_f16_sdwa v34, v18, v79 dst_sel:DWORD dst_unused:UNUSED_PAD src0_sel:WORD_1 src1_sel:DWORD
	v_lshrrev_b32_e32 v84, 16, v28
	v_fmac_f16_e32 v31, v17, v29
	v_mul_f16_sdwa v29, v18, v27 dst_sel:DWORD dst_unused:UNUSED_PAD src0_sel:WORD_1 src1_sel:DWORD
	v_fma_f16 v17, v17, v78, -v32
	v_mul_f16_sdwa v32, v15, v82 dst_sel:DWORD dst_unused:UNUSED_PAD src0_sel:WORD_1 src1_sel:DWORD
	v_fmac_f16_e32 v34, v18, v27
	v_mul_f16_sdwa v27, v15, v30 dst_sel:DWORD dst_unused:UNUSED_PAD src0_sel:WORD_1 src1_sel:DWORD
	v_fma_f16 v18, v18, v79, -v29
	v_mul_f16_sdwa v29, v16, v84 dst_sel:DWORD dst_unused:UNUSED_PAD src0_sel:WORD_1 src1_sel:DWORD
	v_fmac_f16_e32 v32, v15, v30
	v_mul_f16_sdwa v30, v16, v28 dst_sel:DWORD dst_unused:UNUSED_PAD src0_sel:WORD_1 src1_sel:DWORD
	v_lshrrev_b32_e32 v38, 16, v25
	v_fma_f16 v15, v15, v82, -v27
	v_add_f16_e32 v27, v81, v85
	v_fmac_f16_e32 v29, v16, v28
	v_fma_f16 v16, v16, v84, -v30
	v_add_f16_e32 v30, v23, v24
	v_add_f16_e32 v28, v25, v81
	v_fma_f16 v25, -0.5, v27, v25
	v_sub_f16_e32 v27, v23, v24
	v_add_f16_e32 v23, v38, v23
	v_fmac_f16_e32 v38, -0.5, v30
	v_sub_f16_e32 v30, v81, v85
	v_lshrrev_b32_e32 v41, 16, v26
	v_fmamk_f16 v40, v27, 0xbaee, v25
	v_add_f16_e32 v23, v23, v24
	v_add_f16_e32 v24, v39, v33
	v_fmac_f16_e32 v25, 0x3aee, v27
	v_fmamk_f16 v27, v30, 0x3aee, v38
	v_fmac_f16_e32 v38, 0xbaee, v30
	v_add_f16_e32 v30, v19, v20
	v_add_f16_e32 v42, v26, v39
	v_fmac_f16_e32 v26, -0.5, v24
	v_sub_f16_e32 v24, v19, v20
	v_add_f16_e32 v19, v41, v19
	v_fmac_f16_e32 v41, -0.5, v30
	v_sub_f16_e32 v30, v39, v33
	v_lshrrev_b32_e32 v76, 16, v13
	v_add_f16_e32 v42, v42, v33
	v_add_f16_e32 v19, v19, v20
	;; [unrolled: 1-line block ×3, first 2 shown]
	v_fmamk_f16 v33, v24, 0xbaee, v26
	v_fmac_f16_e32 v26, 0x3aee, v24
	v_fmamk_f16 v24, v30, 0x3aee, v41
	v_fmac_f16_e32 v41, 0xbaee, v30
	v_add_f16_e32 v30, v17, v18
	v_add_f16_e32 v39, v13, v31
	v_fma_f16 v13, -0.5, v20, v13
	v_sub_f16_e32 v20, v17, v18
	v_add_f16_e32 v17, v76, v17
	v_fmac_f16_e32 v76, -0.5, v30
	v_sub_f16_e32 v30, v31, v34
	v_lshrrev_b32_e32 v80, 16, v14
	v_fmamk_f16 v31, v20, 0xbaee, v13
	v_add_f16_e32 v17, v17, v18
	v_add_f16_e32 v18, v32, v29
	v_fmac_f16_e32 v13, 0x3aee, v20
	v_fmamk_f16 v20, v30, 0x3aee, v76
	v_fmac_f16_e32 v76, 0xbaee, v30
	v_add_f16_e32 v30, v15, v16
	v_add_f16_e32 v28, v28, v85
	;; [unrolled: 1-line block ×4, first 2 shown]
	v_fmac_f16_e32 v14, -0.5, v18
	v_sub_f16_e32 v18, v15, v16
	v_add_f16_e32 v15, v80, v15
	v_fmac_f16_e32 v80, -0.5, v30
	v_sub_f16_e32 v30, v32, v29
	v_pack_b32_f16 v25, v25, v38
	v_fmamk_f16 v32, v18, 0xbaee, v14
	v_fmac_f16_e32 v14, 0x3aee, v18
	v_pack_b32_f16 v18, v28, v23
	v_pack_b32_f16 v23, v40, v27
	;; [unrolled: 1-line block ×4, first 2 shown]
	v_add_f16_e32 v29, v34, v29
	v_add_f16_e32 v15, v15, v16
	v_fmamk_f16 v16, v30, 0x3aee, v80
	v_fmac_f16_e32 v80, 0xbaee, v30
	v_add_nc_u32_e32 v36, 0x30c, v45
	v_add_nc_u32_e32 v35, 0x3a8, v45
	s_barrier
	buffer_gl0_inv
	ds_write2_b32 v68, v18, v23 offset1:13
	ds_write_b32 v68, v25 offset:104
	ds_write2_b32 v65, v19, v24 offset1:13
	v_pack_b32_f16 v18, v26, v41
	v_pack_b32_f16 v17, v39, v17
	v_pack_b32_f16 v19, v31, v20
	v_pack_b32_f16 v13, v13, v76
	v_pack_b32_f16 v15, v29, v15
	v_pack_b32_f16 v16, v32, v16
	v_pack_b32_f16 v14, v14, v80
	ds_write_b32 v65, v18 offset:104
	ds_write2_b32 v67, v17, v19 offset1:13
	ds_write_b32 v67, v13 offset:104
	ds_write2_b32 v66, v15, v16 offset1:13
	ds_write_b32 v66, v14 offset:104
	s_and_saveexec_b32 s1, s0
	s_cbranch_execz .LBB0_21
; %bb.20:
	v_mul_f16_sdwa v13, v9, v12 dst_sel:DWORD dst_unused:UNUSED_PAD src0_sel:WORD_1 src1_sel:DWORD
	v_mul_f16_sdwa v14, v10, v44 dst_sel:DWORD dst_unused:UNUSED_PAD src0_sel:WORD_1 src1_sel:DWORD
	;; [unrolled: 1-line block ×4, first 2 shown]
	v_fma_f16 v13, v9, v43, -v13
	v_fma_f16 v14, v10, v77, -v14
	v_fmac_f16_e32 v15, v9, v12
	v_fmac_f16_e32 v16, v10, v44
	v_mov_b32_e32 v12, 39
	v_add_f16_e32 v9, v14, v13
	v_sub_f16_e32 v18, v13, v14
	v_add_f16_e32 v10, v16, v15
	v_sub_f16_e32 v17, v15, v16
	v_mul_u32_u24_sdwa v12, v62, v12 dst_sel:DWORD dst_unused:UNUSED_PAD src0_sel:WORD_0 src1_sel:DWORD
	v_fma_f16 v9, -0.5, v9, v37
	v_add_f16_e32 v13, v13, v37
	v_fma_f16 v10, -0.5, v10, v11
	v_add_f16_e32 v11, v11, v15
	v_add_nc_u32_sdwa v12, v12, v63 dst_sel:DWORD dst_unused:UNUSED_PAD src0_sel:DWORD src1_sel:BYTE_0
	v_fmamk_f16 v15, v17, 0xbaee, v9
	v_fmac_f16_e32 v9, 0x3aee, v17
	v_fmamk_f16 v19, v18, 0x3aee, v10
	v_add_f16_e32 v13, v14, v13
	v_add_f16_e32 v11, v16, v11
	v_fmac_f16_e32 v10, 0xbaee, v18
	v_lshl_add_u32 v12, v12, 2, v60
	v_pack_b32_f16 v11, v11, v13
	v_pack_b32_f16 v9, v10, v9
	;; [unrolled: 1-line block ×3, first 2 shown]
	ds_write2_b32 v12, v11, v9 offset1:13
	ds_write_b32 v12, v10 offset:104
.LBB0_21:
	s_or_b32 exec_lo, exec_lo, s1
	s_waitcnt lgkmcnt(0)
	s_barrier
	buffer_gl0_inv
	ds_read2_b32 v[11:12], v45 offset0:78 offset1:117
	ds_read2_b32 v[13:14], v45 offset0:156 offset1:195
	v_add_nc_u32_e32 v10, 0x200, v45
	v_add_nc_u32_e32 v9, 0x400, v45
	ds_read2_b32 v[15:16], v10 offset0:106 offset1:145
	ds_read2_b32 v[17:18], v9 offset0:56 offset1:95
	;; [unrolled: 1-line block ×4, first 2 shown]
	ds_read2_b32 v[25:26], v45 offset1:39
	s_waitcnt lgkmcnt(0)
	s_barrier
	buffer_gl0_inv
	s_mov_b32 s4, 0x1e01e01e
	s_mov_b32 s5, 0x3f5e01e0
	v_lshrrev_b32_e32 v27, 16, v11
	v_lshrrev_b32_e32 v28, 16, v13
	v_mul_f16_sdwa v31, v0, v11 dst_sel:DWORD dst_unused:UNUSED_PAD src0_sel:WORD_1 src1_sel:DWORD
	v_mul_f16_sdwa v32, v1, v13 dst_sel:DWORD dst_unused:UNUSED_PAD src0_sel:WORD_1 src1_sel:DWORD
	v_lshrrev_b32_e32 v33, 16, v15
	v_lshrrev_b32_e32 v34, 16, v17
	;; [unrolled: 1-line block ×3, first 2 shown]
	v_mul_f16_sdwa v41, v0, v27 dst_sel:DWORD dst_unused:UNUSED_PAD src0_sel:WORD_1 src1_sel:DWORD
	v_mul_f16_sdwa v42, v1, v28 dst_sel:DWORD dst_unused:UNUSED_PAD src0_sel:WORD_1 src1_sel:DWORD
	v_lshrrev_b32_e32 v29, 16, v12
	v_lshrrev_b32_e32 v38, 16, v23
	v_fma_f16 v27, v0, v27, -v31
	v_fmac_f16_e32 v41, v0, v11
	v_fmac_f16_e32 v42, v1, v13
	v_fma_f16 v11, v1, v28, -v32
	v_mul_f16_sdwa v13, v2, v33 dst_sel:DWORD dst_unused:UNUSED_PAD src0_sel:WORD_1 src1_sel:DWORD
	v_mul_f16_sdwa v28, v2, v15 dst_sel:DWORD dst_unused:UNUSED_PAD src0_sel:WORD_1 src1_sel:DWORD
	;; [unrolled: 1-line block ×5, first 2 shown]
	v_lshrrev_b32_e32 v30, 16, v14
	v_lshrrev_b32_e32 v39, 16, v16
	;; [unrolled: 1-line block ×3, first 2 shown]
	v_fmac_f16_e32 v13, v2, v15
	v_fma_f16 v15, v2, v33, -v28
	v_fmac_f16_e32 v31, v3, v17
	v_fma_f16 v17, v3, v34, -v32
	v_fmac_f16_e32 v60, v21, v19
	v_mul_f16_sdwa v19, v21, v19 dst_sel:DWORD dst_unused:UNUSED_PAD src0_sel:WORD_1 src1_sel:DWORD
	v_mul_f16_sdwa v28, v22, v38 dst_sel:DWORD dst_unused:UNUSED_PAD src0_sel:WORD_1 src1_sel:DWORD
	;; [unrolled: 1-line block ×5, first 2 shown]
	v_lshrrev_b32_e32 v43, 16, v20
	v_lshrrev_b32_e32 v44, 16, v24
	v_fma_f16 v19, v21, v37, -v19
	v_fmac_f16_e32 v28, v22, v23
	v_fma_f16 v23, v22, v38, -v32
	v_fmac_f16_e32 v33, v0, v12
	v_fma_f16 v0, v0, v29, -v34
	v_mul_f16_sdwa v12, v1, v30 dst_sel:DWORD dst_unused:UNUSED_PAD src0_sel:WORD_1 src1_sel:DWORD
	v_mul_f16_sdwa v29, v1, v14 dst_sel:DWORD dst_unused:UNUSED_PAD src0_sel:WORD_1 src1_sel:DWORD
	;; [unrolled: 1-line block ×5, first 2 shown]
	v_fmac_f16_e32 v12, v1, v14
	v_fma_f16 v1, v1, v30, -v29
	v_fmac_f16_e32 v32, v2, v16
	v_fmac_f16_e32 v37, v3, v18
	v_mul_f16_sdwa v14, v3, v18 dst_sel:DWORD dst_unused:UNUSED_PAD src0_sel:WORD_1 src1_sel:DWORD
	v_mul_f16_sdwa v16, v21, v43 dst_sel:DWORD dst_unused:UNUSED_PAD src0_sel:WORD_1 src1_sel:DWORD
	;; [unrolled: 1-line block ×5, first 2 shown]
	v_fma_f16 v3, v3, v40, -v14
	v_fmac_f16_e32 v16, v21, v20
	v_fma_f16 v14, v21, v43, -v18
	v_fmac_f16_e32 v29, v22, v24
	v_add_f16_e32 v20, v41, v28
	v_add_f16_e32 v21, v27, v23
	v_sub_f16_e32 v23, v27, v23
	v_add_f16_e32 v24, v42, v60
	v_add_f16_e32 v27, v11, v19
	v_fma_f16 v18, v22, v44, -v30
	v_sub_f16_e32 v22, v41, v28
	v_sub_f16_e32 v28, v42, v60
	;; [unrolled: 1-line block ×3, first 2 shown]
	v_add_f16_e32 v19, v13, v31
	v_add_f16_e32 v30, v15, v17
	v_sub_f16_e32 v13, v31, v13
	v_sub_f16_e32 v15, v17, v15
	v_add_f16_e32 v17, v24, v20
	v_add_f16_e32 v31, v27, v21
	v_fma_f16 v2, v2, v39, -v34
	v_sub_f16_e32 v34, v24, v20
	v_sub_f16_e32 v38, v27, v21
	v_sub_f16_e32 v20, v20, v19
	v_sub_f16_e32 v21, v21, v30
	v_sub_f16_e32 v24, v19, v24
	v_sub_f16_e32 v27, v30, v27
	v_add_f16_e32 v39, v13, v28
	v_add_f16_e32 v40, v15, v11
	v_sub_f16_e32 v41, v13, v28
	v_sub_f16_e32 v42, v15, v11
	v_sub_f16_e32 v28, v28, v22
	v_add_f16_e32 v17, v19, v17
	v_add_f16_e32 v19, v30, v31
	v_sub_f16_e32 v11, v11, v23
	v_sub_f16_e32 v13, v22, v13
	;; [unrolled: 1-line block ×3, first 2 shown]
	v_add_f16_e32 v22, v39, v22
	v_add_f16_e32 v23, v40, v23
	;; [unrolled: 1-line block ×3, first 2 shown]
	v_add_f16_sdwa v25, v25, v19 dst_sel:DWORD dst_unused:UNUSED_PAD src0_sel:WORD_1 src1_sel:DWORD
	v_mul_f16_e32 v20, 0x3a52, v20
	v_mul_f16_e32 v21, 0x3a52, v21
	;; [unrolled: 1-line block ×8, first 2 shown]
	v_fmamk_f16 v17, v17, 0xbcab, v30
	v_fmamk_f16 v19, v19, 0xbcab, v25
	;; [unrolled: 1-line block ×4, first 2 shown]
	v_fma_f16 v31, v34, 0x39e0, -v31
	v_fma_f16 v39, v38, 0x39e0, -v39
	;; [unrolled: 1-line block ×4, first 2 shown]
	v_fmamk_f16 v34, v13, 0xb574, v40
	v_fmamk_f16 v38, v15, 0xb574, v41
	v_fma_f16 v11, v11, 0xbb00, -v41
	v_fma_f16 v13, v13, 0x3574, -v42
	;; [unrolled: 1-line block ×4, first 2 shown]
	v_add_f16_e32 v24, v24, v17
	v_add_f16_e32 v27, v27, v19
	;; [unrolled: 1-line block ×6, first 2 shown]
	v_fmac_f16_e32 v34, 0xb70e, v22
	v_fmac_f16_e32 v38, 0xb70e, v23
	;; [unrolled: 1-line block ×6, first 2 shown]
	v_add_f16_e32 v20, v38, v24
	v_sub_f16_e32 v21, v27, v34
	v_add_f16_e32 v22, v15, v17
	v_sub_f16_e32 v23, v19, v13
	v_sub_f16_e32 v40, v31, v11
	v_add_f16_e32 v11, v11, v31
	v_sub_f16_e32 v15, v17, v15
	v_add_f16_e32 v13, v13, v19
	v_sub_f16_e32 v17, v24, v38
	v_add_f16_e32 v19, v34, v27
	v_add_f16_e32 v24, v33, v29
	v_add_f16_e32 v27, v0, v18
	v_sub_f16_e32 v0, v0, v18
	v_add_f16_e32 v18, v12, v16
	v_add_f16_e32 v31, v1, v14
	v_sub_f16_e32 v29, v33, v29
	v_sub_f16_e32 v12, v12, v16
	;; [unrolled: 1-line block ×3, first 2 shown]
	v_add_f16_e32 v14, v32, v37
	v_add_f16_e32 v16, v2, v3
	v_sub_f16_e32 v32, v37, v32
	v_sub_f16_e32 v2, v3, v2
	v_add_f16_e32 v3, v18, v24
	v_add_f16_e32 v33, v31, v27
	;; [unrolled: 1-line block ×3, first 2 shown]
	v_sub_f16_e32 v28, v39, v28
	v_sub_f16_e32 v34, v18, v24
	;; [unrolled: 1-line block ×7, first 2 shown]
	v_add_f16_e32 v38, v32, v12
	v_add_f16_e32 v39, v2, v1
	v_sub_f16_e32 v42, v32, v12
	v_sub_f16_e32 v43, v2, v1
	v_sub_f16_e32 v12, v12, v29
	v_add_f16_e32 v3, v14, v3
	v_add_f16_e32 v14, v16, v33
	v_sub_f16_e32 v1, v1, v0
	v_sub_f16_e32 v32, v29, v32
	;; [unrolled: 1-line block ×3, first 2 shown]
	v_add_f16_e32 v16, v38, v29
	v_add_f16_e32 v0, v39, v0
	;; [unrolled: 1-line block ×3, first 2 shown]
	v_add_f16_sdwa v26, v26, v14 dst_sel:DWORD dst_unused:UNUSED_PAD src0_sel:WORD_1 src1_sel:DWORD
	v_mul_f16_e32 v24, 0x3a52, v24
	v_mul_f16_e32 v27, 0x3a52, v27
	;; [unrolled: 1-line block ×8, first 2 shown]
	v_fmamk_f16 v3, v3, 0xbcab, v29
	v_fmamk_f16 v14, v14, 0xbcab, v26
	;; [unrolled: 1-line block ×4, first 2 shown]
	v_fma_f16 v33, v34, 0x39e0, -v33
	v_fma_f16 v38, v37, 0x39e0, -v38
	;; [unrolled: 1-line block ×4, first 2 shown]
	v_fmamk_f16 v34, v32, 0xb574, v39
	v_fmamk_f16 v37, v2, 0xb574, v42
	v_fma_f16 v32, v32, 0x3574, -v43
	v_fma_f16 v2, v2, 0x3574, -v44
	;; [unrolled: 1-line block ×4, first 2 shown]
	v_add_f16_e32 v18, v18, v3
	v_add_f16_e32 v31, v31, v14
	;; [unrolled: 1-line block ×6, first 2 shown]
	v_fmac_f16_e32 v34, 0xb70e, v16
	v_fmac_f16_e32 v37, 0xb70e, v0
	;; [unrolled: 1-line block ×6, first 2 shown]
	v_add_f16_e32 v0, v37, v18
	v_sub_f16_e32 v16, v31, v34
	v_add_f16_e32 v24, v2, v3
	v_sub_f16_e32 v27, v14, v32
	v_sub_f16_e32 v39, v33, v1
	v_add_f16_e32 v42, v12, v38
	v_add_f16_e32 v1, v1, v33
	v_sub_f16_e32 v12, v38, v12
	v_sub_f16_e32 v2, v3, v2
	v_add_f16_e32 v3, v32, v14
	v_sub_f16_e32 v14, v18, v37
	v_add_f16_e32 v18, v34, v31
	v_pack_b32_f16 v25, v30, v25
	v_pack_b32_f16 v20, v20, v21
	v_pack_b32_f16 v11, v11, v28
	v_pack_b32_f16 v13, v15, v13
	v_pack_b32_f16 v21, v22, v23
	v_pack_b32_f16 v22, v40, v41
	v_pack_b32_f16 v15, v17, v19
	v_pack_b32_f16 v17, v29, v26
	v_pack_b32_f16 v0, v0, v16
	v_pack_b32_f16 v16, v24, v27
	v_pack_b32_f16 v19, v39, v42
	v_pack_b32_f16 v1, v1, v12
	v_pack_b32_f16 v2, v2, v3
	v_pack_b32_f16 v3, v14, v18
	ds_write2_b32 v45, v25, v20 offset1:39
	ds_write2_b32 v45, v21, v22 offset0:78 offset1:117
	ds_write2_b32 v45, v11, v13 offset0:156 offset1:195
	;; [unrolled: 1-line block ×6, first 2 shown]
	s_waitcnt lgkmcnt(0)
	s_barrier
	buffer_gl0_inv
	ds_read2_b32 v[0:1], v45 offset1:39
	ds_read2_b32 v[2:3], v10 offset0:106 offset1:145
	ds_read2_b32 v[11:12], v9 offset0:56 offset1:95
	;; [unrolled: 1-line block ×6, first 2 shown]
	s_waitcnt lgkmcnt(6)
	v_lshrrev_b32_e32 v21, 16, v0
	s_waitcnt lgkmcnt(5)
	v_lshrrev_b32_e32 v22, 16, v3
	;; [unrolled: 2-line block ×3, first 2 shown]
	v_mul_f16_sdwa v34, v75, v3 dst_sel:DWORD dst_unused:UNUSED_PAD src0_sel:WORD_1 src1_sel:DWORD
	s_waitcnt lgkmcnt(2)
	v_lshrrev_b32_e32 v28, 16, v15
	v_lshrrev_b32_e32 v26, 16, v12
	v_mul_f16_sdwa v33, v75, v22 dst_sel:DWORD dst_unused:UNUSED_PAD src0_sel:WORD_1 src1_sel:DWORD
	v_mul_f16_sdwa v38, v71, v24 dst_sel:DWORD dst_unused:UNUSED_PAD src0_sel:WORD_1 src1_sel:DWORD
	v_lshrrev_b32_e32 v30, 16, v16
	v_mul_f16_sdwa v40, v74, v28 dst_sel:DWORD dst_unused:UNUSED_PAD src0_sel:WORD_1 src1_sel:DWORD
	s_waitcnt lgkmcnt(0)
	v_lshrrev_b32_e32 v39, 16, v20
	v_fmac_f16_e32 v33, v75, v3
	v_fma_f16 v3, v75, v22, -v34
	v_mul_f16_sdwa v22, v71, v11 dst_sel:DWORD dst_unused:UNUSED_PAD src0_sel:WORD_1 src1_sel:DWORD
	v_fmac_f16_e32 v38, v71, v11
	v_mul_f16_sdwa v11, v72, v26 dst_sel:DWORD dst_unused:UNUSED_PAD src0_sel:WORD_1 src1_sel:DWORD
	v_mul_f16_sdwa v34, v72, v12 dst_sel:DWORD dst_unused:UNUSED_PAD src0_sel:WORD_1 src1_sel:DWORD
	v_fmac_f16_e32 v40, v74, v15
	v_fma_f16 v22, v71, v24, -v22
	v_mul_f16_sdwa v24, v74, v15 dst_sel:DWORD dst_unused:UNUSED_PAD src0_sel:WORD_1 src1_sel:DWORD
	v_mul_f16_sdwa v15, v70, v30 dst_sel:DWORD dst_unused:UNUSED_PAD src0_sel:WORD_1 src1_sel:DWORD
	v_lshrrev_b32_e32 v32, 16, v19
	v_fmac_f16_e32 v11, v72, v12
	v_fma_f16 v12, v72, v26, -v34
	v_mul_f16_sdwa v26, v70, v16 dst_sel:DWORD dst_unused:UNUSED_PAD src0_sel:WORD_1 src1_sel:DWORD
	v_fmac_f16_e32 v15, v70, v16
	v_mul_f16_sdwa v16, v69, v39 dst_sel:DWORD dst_unused:UNUSED_PAD src0_sel:WORD_1 src1_sel:DWORD
	v_fma_f16 v24, v74, v28, -v24
	v_mul_f16_sdwa v28, v73, v32 dst_sel:DWORD dst_unused:UNUSED_PAD src0_sel:WORD_1 src1_sel:DWORD
	v_mul_f16_sdwa v34, v73, v19 dst_sel:DWORD dst_unused:UNUSED_PAD src0_sel:WORD_1 src1_sel:DWORD
	v_lshrrev_b32_e32 v23, 16, v1
	v_lshrrev_b32_e32 v25, 16, v13
	;; [unrolled: 1-line block ×3, first 2 shown]
	v_fma_f16 v26, v70, v30, -v26
	v_mul_f16_sdwa v30, v69, v20 dst_sel:DWORD dst_unused:UNUSED_PAD src0_sel:WORD_1 src1_sel:DWORD
	v_lshrrev_b32_e32 v29, 16, v17
	v_fmac_f16_e32 v16, v69, v20
	v_sub_f16_e32 v20, v0, v33
	v_sub_f16_e32 v3, v21, v3
	v_lshrrev_b32_e32 v31, 16, v18
	v_fmac_f16_e32 v28, v73, v19
	v_fma_f16 v19, v73, v32, -v34
	v_sub_f16_e32 v32, v1, v38
	v_sub_f16_e32 v22, v23, v22
	;; [unrolled: 1-line block ×4, first 2 shown]
	v_lshrrev_b32_e32 v37, 16, v2
	v_fma_f16 v30, v69, v39, -v30
	v_sub_f16_e32 v33, v14, v40
	v_sub_f16_e32 v24, v27, v24
	;; [unrolled: 1-line block ×4, first 2 shown]
	v_fma_f16 v0, v0, 2.0, -v20
	v_fma_f16 v21, v21, 2.0, -v3
	v_sub_f16_e32 v28, v18, v28
	v_sub_f16_e32 v19, v31, v19
	v_fma_f16 v1, v1, 2.0, -v32
	v_fma_f16 v23, v23, 2.0, -v22
	;; [unrolled: 1-line block ×6, first 2 shown]
	v_sub_f16_e32 v16, v2, v16
	v_sub_f16_e32 v30, v37, v30
	v_fma_f16 v17, v17, 2.0, -v15
	v_fma_f16 v29, v29, 2.0, -v26
	v_pack_b32_f16 v0, v0, v21
	v_fma_f16 v18, v18, 2.0, -v28
	v_fma_f16 v31, v31, 2.0, -v19
	v_pack_b32_f16 v3, v20, v3
	v_pack_b32_f16 v20, v32, v22
	v_add_nc_u32_e32 v21, 0x400, v61
	v_pack_b32_f16 v1, v1, v23
	v_pack_b32_f16 v13, v13, v25
	v_fma_f16 v2, v2, 2.0, -v16
	v_fma_f16 v34, v37, 2.0, -v30
	v_pack_b32_f16 v11, v11, v12
	v_pack_b32_f16 v12, v14, v27
	;; [unrolled: 1-line block ×4, first 2 shown]
	ds_write_b32 v45, v0
	ds_write2_b32 v21, v3, v20 offset0:17 offset1:56
	ds_write2_b32 v61, v1, v13 offset0:39 offset1:78
	;; [unrolled: 1-line block ×4, first 2 shown]
	v_pack_b32_f16 v0, v15, v26
	v_pack_b32_f16 v1, v18, v31
	;; [unrolled: 1-line block ×5, first 2 shown]
	ds_write_b32 v61, v0 offset:1716
	ds_write_b32 v61, v1 offset:780
	;; [unrolled: 1-line block ×5, first 2 shown]
	s_waitcnt lgkmcnt(0)
	s_barrier
	buffer_gl0_inv
	ds_read2_b32 v[0:1], v45 offset1:42
	s_waitcnt lgkmcnt(0)
	v_lshrrev_b32_e32 v2, 16, v0
	v_lshrrev_b32_e32 v19, 16, v1
	v_mul_f16_sdwa v3, v59, v2 dst_sel:DWORD dst_unused:UNUSED_PAD src0_sel:WORD_1 src1_sel:DWORD
	v_mul_f16_sdwa v20, v58, v19 dst_sel:DWORD dst_unused:UNUSED_PAD src0_sel:WORD_1 src1_sel:DWORD
	v_fmac_f16_e32 v3, v59, v0
	v_mul_f16_sdwa v0, v59, v0 dst_sel:DWORD dst_unused:UNUSED_PAD src0_sel:WORD_1 src1_sel:DWORD
	v_fmac_f16_e32 v20, v58, v1
	v_cvt_f32_f16_e32 v3, v3
	v_fma_f16 v0, v59, v2, -v0
	v_cvt_f64_f32_e32 v[2:3], v3
	v_cvt_f32_f16_e32 v0, v0
	v_cvt_f64_f32_e32 v[11:12], v0
	v_mul_f64 v[2:3], v[2:3], s[4:5]
	v_mul_f64 v[11:12], v[11:12], s[4:5]
	v_and_or_b32 v0, 0x1ff, v3, v2
	v_lshrrev_b32_e32 v2, 8, v3
	v_bfe_u32 v13, v3, 20, 11
	v_cmp_ne_u32_e64 s0, 0, v0
	v_and_or_b32 v11, 0x1ff, v12, v11
	v_lshrrev_b32_e32 v14, 8, v12
	v_bfe_u32 v17, v12, 20, 11
	v_add_nc_u32_e32 v22, 0xfffffc10, v13
	v_cndmask_b32_e64 v0, 0, 1, s0
	v_cmp_ne_u32_e64 s0, 0, v11
	v_lshrrev_b32_e32 v25, 16, v12
	v_cmp_gt_i32_e64 s2, 31, v22
	v_and_or_b32 v2, 0xffe, v2, v0
	v_sub_nc_u32_e32 v0, 0x3f1, v13
	v_cndmask_b32_e64 v11, 0, 1, s0
	v_or_b32_e32 v15, 0x1000, v2
	v_med3_i32 v0, v0, 0, 13
	v_and_or_b32 v11, 0xffe, v14, v11
	v_sub_nc_u32_e32 v14, 0x3f1, v17
	v_lshl_or_b32 v23, v22, 12, v2
	v_lshrrev_b32_e32 v16, v0, v15
	v_or_b32_e32 v18, 0x1000, v11
	v_med3_i32 v14, v14, 0, 13
	v_lshlrev_b32_e32 v0, v0, v16
	v_lshrrev_b32_e32 v21, v14, v18
	v_cmp_ne_u32_e64 s0, v0, v15
	v_cvt_f32_f16_e32 v15, v20
	v_lshlrev_b32_e32 v20, v14, v21
	v_mad_u64_u32 v[13:14], null, s10, v6, 0
	v_cndmask_b32_e64 v0, 0, 1, s0
	v_cmp_ne_u32_e64 s0, v20, v18
	v_add_nc_u32_e32 v20, 0xfffffc10, v17
	v_or_b32_e32 v0, v16, v0
	v_cvt_f64_f32_e32 v[15:16], v15
	v_cndmask_b32_e64 v18, 0, 1, s0
	v_cmp_gt_i32_e64 s0, 1, v22
	v_cndmask_b32_e64 v23, v23, v0, s0
	v_mov_b32_e32 v0, v14
	v_or_b32_e32 v14, v21, v18
	v_lshl_or_b32 v21, v20, 12, v11
	v_cmp_gt_i32_e64 s0, 1, v20
	v_and_b32_e32 v24, 7, v23
	v_mad_u64_u32 v[17:18], null, s11, v6, v[0:1]
	v_mul_f16_sdwa v0, v58, v1 dst_sel:DWORD dst_unused:UNUSED_PAD src0_sel:WORD_1 src1_sel:DWORD
	v_cndmask_b32_e64 v6, v21, v14, s0
	v_cmp_lt_i32_e64 s0, 5, v24
	v_cmp_eq_u32_e64 s1, 3, v24
	v_lshrrev_b32_e32 v14, 2, v23
	v_fma_f16 v19, v58, v19, -v0
	v_and_b32_e32 v18, 7, v6
	v_mul_f64 v[0:1], v[15:16], s[4:5]
	s_or_b32 s0, s1, s0
	v_lshrrev_b32_e32 v6, 2, v6
	v_add_co_ci_u32_e64 v16, s0, 0, v14, s0
	v_cmp_ne_u32_e64 s0, 0, v2
	v_cmp_eq_u32_e64 s1, 3, v18
	v_cvt_f32_f16_e32 v14, v19
	v_cndmask_b32_e64 v16, 0x7c00, v16, s2
	v_cndmask_b32_e64 v2, 0, 1, s0
	v_cmp_lt_i32_e64 s0, 5, v18
	v_cvt_f64_f32_e32 v[14:15], v14
	ds_read2_b32 v[18:19], v45 offset0:84 offset1:126
	v_lshl_or_b32 v2, v2, 9, 0x7c00
	s_or_b32 s0, s1, s0
	v_add_co_ci_u32_e64 v6, s0, 0, v6, s0
	v_cmp_eq_u32_e64 s0, 0x40f, v22
	v_lshrrev_b32_e32 v22, 16, v3
	v_and_or_b32 v0, 0x1ff, v1, v0
	v_lshrrev_b32_e32 v23, 8, v1
	v_bfe_u32 v24, v1, 20, 11
	v_cndmask_b32_e64 v21, v16, v2, s0
	v_cmp_gt_i32_e64 s0, 31, v20
	v_mad_u64_u32 v[2:3], null, s8, v56, 0
	v_cndmask_b32_e64 v6, 0x7c00, v6, s0
	v_cmp_ne_u32_e64 s0, 0, v11
	v_mul_f64 v[15:16], v[14:15], s[4:5]
	v_sub_nc_u32_e32 v14, 0x3f1, v24
	v_cndmask_b32_e64 v11, 0, 1, s0
	v_cmp_ne_u32_e64 s0, 0, v0
	v_lshl_or_b32 v11, v11, 9, 0x7c00
	v_cndmask_b32_e64 v0, 0, 1, s0
	v_cmp_eq_u32_e64 s0, 0x40f, v20
	v_and_or_b32 v23, 0xffe, v23, v0
	v_mov_b32_e32 v0, v3
	v_med3_i32 v3, v14, 0, 13
	v_cndmask_b32_e64 v6, v6, v11, s0
	v_mov_b32_e32 v14, v17
	v_or_b32_e32 v20, 0x1000, v23
	v_mad_u64_u32 v[11:12], null, s9, v56, v[0:1]
	v_and_or_b32 v12, 0x8000, v22, v21
	s_waitcnt lgkmcnt(0)
	v_lshrrev_b32_e32 v22, 16, v18
	v_lshrrev_b32_e32 v0, v3, v20
	v_and_or_b32 v6, 0x8000, v25, v6
	v_lshrrev_b32_e32 v1, 16, v1
	v_and_b32_e32 v21, 0xffff, v12
	v_lshlrev_b32_e32 v17, v3, v0
	v_mov_b32_e32 v3, v11
	v_and_or_b32 v11, 0x1ff, v16, v15
	v_add_nc_u32_e32 v15, 0xfffffc10, v24
	v_bfe_u32 v24, v16, 20, 11
	v_cmp_ne_u32_e64 s0, v17, v20
	v_mul_f16_sdwa v17, v57, v22 dst_sel:DWORD dst_unused:UNUSED_PAD src0_sel:WORD_1 src1_sel:DWORD
	v_lshrrev_b32_e32 v20, 8, v16
	v_lshl_or_b32 v6, v6, 16, v21
	v_lshlrev_b64 v[2:3], 2, v[2:3]
	v_cndmask_b32_e64 v12, 0, 1, s0
	v_cmp_ne_u32_e64 s0, 0, v11
	v_fmac_f16_e32 v17, v57, v18
	v_lshrrev_b32_e32 v16, 16, v16
	v_or_b32_e32 v0, v0, v12
	v_cndmask_b32_e64 v11, 0, 1, s0
	v_lshl_or_b32 v12, v15, 12, v23
	v_cmp_gt_i32_e64 s0, 1, v15
	v_cvt_f32_f16_e32 v17, v17
	v_and_or_b32 v20, 0xffe, v20, v11
	v_sub_nc_u32_e32 v11, 0x3f1, v24
	v_cndmask_b32_e64 v0, v12, v0, s0
	v_or_b32_e32 v25, 0x1000, v20
	v_med3_i32 v26, v11, 0, 13
	v_lshlrev_b64 v[11:12], 2, v[13:14]
	v_cvt_f64_f32_e32 v[13:14], v17
	v_and_b32_e32 v17, 7, v0
	v_lshrrev_b32_e32 v0, 2, v0
	v_lshrrev_b32_e32 v21, v26, v25
	v_add_co_u32 v27, s0, s6, v11
	v_add_co_ci_u32_e64 v28, s0, s7, v12, s0
	v_lshlrev_b32_e32 v11, v26, v21
	v_cmp_lt_i32_e64 s0, 5, v17
	v_cmp_eq_u32_e64 s1, 3, v17
	v_mul_f16_sdwa v12, v57, v18 dst_sel:DWORD dst_unused:UNUSED_PAD src0_sel:WORD_1 src1_sel:DWORD
	v_add_nc_u32_e32 v17, 0xfffffc10, v24
	v_cmp_ne_u32_e64 s2, v11, v25
	s_or_b32 s0, s1, s0
	v_fma_f16 v18, v57, v22, -v12
	v_add_co_ci_u32_e64 v0, s0, 0, v0, s0
	v_cndmask_b32_e64 v11, 0, 1, s2
	v_cmp_ne_u32_e64 s0, 0, v23
	v_lshl_or_b32 v22, v17, 12, v20
	s_mul_i32 s2, s8, 42
	v_or_b32_e32 v21, v21, v11
	v_mul_f64 v[11:12], v[13:14], s[4:5]
	v_cvt_f32_f16_e32 v13, v18
	v_cndmask_b32_e64 v18, 0, 1, s0
	v_cmp_gt_i32_e64 s0, 1, v17
	v_cvt_f64_f32_e32 v[13:14], v13
	v_lshl_or_b32 v18, v18, 9, 0x7c00
	v_cndmask_b32_e64 v21, v22, v21, s0
	v_cmp_gt_i32_e64 s0, 31, v15
	v_and_b32_e32 v22, 7, v21
	v_cndmask_b32_e64 v0, 0x7c00, v0, s0
	v_add_co_u32 v2, s0, v27, v2
	v_add_co_ci_u32_e64 v3, s0, v28, v3, s0
	v_cmp_eq_u32_e64 s0, 0x40f, v15
	v_cmp_eq_u32_e64 s1, 3, v22
	global_store_dword v[2:3], v6, off
	v_lshrrev_b32_e32 v6, 2, v21
	v_cndmask_b32_e64 v0, v0, v18, s0
	v_cmp_lt_i32_e64 s0, 5, v22
	v_and_or_b32 v11, 0x1ff, v12, v11
	v_bfe_u32 v18, v12, 20, 11
	v_and_or_b32 v15, 0x8000, v1, v0
	s_or_b32 s0, s1, s0
	v_mul_f64 v[0:1], v[13:14], s[4:5]
	v_add_co_ci_u32_e64 v6, s0, 0, v6, s0
	v_cmp_ne_u32_e64 s0, 0, v20
	v_lshrrev_b32_e32 v14, 8, v12
	v_lshrrev_b32_e32 v20, 16, v19
	s_mul_hi_u32 s1, s8, 42
	v_add_nc_u32_e32 v24, 0xfffffc10, v18
	v_cndmask_b32_e64 v13, 0, 1, s0
	v_cmp_ne_u32_e64 s0, 0, v11
	v_and_b32_e32 v15, 0xffff, v15
	v_lshl_or_b32 v13, v13, 9, 0x7c00
	v_cndmask_b32_e64 v11, 0, 1, s0
	v_cmp_gt_i32_e64 s0, 31, v17
	v_and_or_b32 v11, 0xffe, v14, v11
	v_sub_nc_u32_e32 v14, 0x3f1, v18
	v_cndmask_b32_e64 v6, 0x7c00, v6, s0
	v_cmp_eq_u32_e64 s0, 0x40f, v17
	v_and_or_b32 v0, 0x1ff, v1, v0
	v_or_b32_e32 v17, 0x1000, v11
	v_med3_i32 v14, v14, 0, 13
	v_lshrrev_b32_e32 v22, 8, v1
	v_cndmask_b32_e64 v6, v6, v13, s0
	v_mul_f16_sdwa v13, v55, v20 dst_sel:DWORD dst_unused:UNUSED_PAD src0_sel:WORD_1 src1_sel:DWORD
	s_mul_i32 s0, s9, 42
	v_lshrrev_b32_e32 v21, v14, v17
	s_add_i32 s3, s1, s0
	v_and_or_b32 v6, 0x8000, v16, v6
	v_fmac_f16_e32 v13, v55, v19
	v_cmp_ne_u32_e64 s0, 0, v0
	v_lshlrev_b32_e32 v16, v14, v21
	v_bfe_u32 v23, v1, 20, 11
	v_lshl_or_b32 v18, v24, 12, v11
	v_cvt_f32_f16_e32 v13, v13
	v_cndmask_b32_e64 v0, 0, 1, s0
	v_cmp_ne_u32_e64 s0, v16, v17
	v_sub_nc_u32_e32 v17, 0x3f1, v23
	v_mul_f16_sdwa v19, v55, v19 dst_sel:DWORD dst_unused:UNUSED_PAD src0_sel:WORD_1 src1_sel:DWORD
	v_cvt_f64_f32_e32 v[13:14], v13
	v_and_or_b32 v0, 0xffe, v22, v0
	v_cndmask_b32_e64 v16, 0, 1, s0
	v_med3_i32 v17, v17, 0, 13
	v_cmp_gt_i32_e64 s0, 1, v24
	v_lshl_or_b32 v6, v6, 16, v15
	v_fma_f16 v15, v55, v20, -v19
	v_or_b32_e32 v16, v21, v16
	v_or_b32_e32 v21, 0x1000, v0
	s_lshl_b64 s[6:7], s[2:3], 2
	v_add_nc_u32_e32 v20, 0xfffffc10, v23
	v_cvt_f32_f16_e32 v15, v15
	v_cndmask_b32_e64 v18, v18, v16, s0
	v_lshrrev_b32_e32 v22, v17, v21
	v_add_co_u32 v2, s0, v2, s6
	v_add_co_ci_u32_e64 v3, s0, s7, v3, s0
	v_lshlrev_b32_e32 v17, v17, v22
	v_and_b32_e32 v19, 7, v18
	v_cvt_f64_f32_e32 v[15:16], v15
	global_store_dword v[2:3], v6, off
	v_mul_f64 v[13:14], v[13:14], s[4:5]
	v_cmp_ne_u32_e64 s1, v17, v21
	v_cmp_lt_i32_e64 s0, 5, v19
	v_lshrrev_b32_e32 v6, 2, v18
	v_lshl_or_b32 v18, v20, 12, v0
	v_lshrrev_b32_e32 v1, 16, v1
	v_cndmask_b32_e64 v17, 0, 1, s1
	v_cmp_eq_u32_e64 s1, 3, v19
	v_or_b32_e32 v17, v22, v17
	s_or_b32 s0, s1, s0
	v_add_co_ci_u32_e64 v6, s0, 0, v6, s0
	v_cmp_ne_u32_e64 s0, 0, v11
	v_mul_f64 v[15:16], v[15:16], s[4:5]
	v_cndmask_b32_e64 v11, 0, 1, s0
	v_cmp_gt_i32_e64 s0, 1, v20
	v_and_or_b32 v13, 0x1ff, v14, v13
	v_lshrrev_b32_e32 v22, 8, v14
	v_bfe_u32 v23, v14, 20, 11
	v_lshl_or_b32 v11, v11, 9, 0x7c00
	v_cndmask_b32_e64 v19, v18, v17, s0
	v_cmp_gt_i32_e64 s0, 31, v24
	ds_read2_b32 v[17:18], v45 offset0:168 offset1:210
	v_and_b32_e32 v21, 7, v19
	v_cndmask_b32_e64 v6, 0x7c00, v6, s0
	v_cmp_ne_u32_e64 s0, 0, v13
	v_cmp_eq_u32_e64 s1, 3, v21
	v_cndmask_b32_e64 v13, 0, 1, s0
	v_cmp_eq_u32_e64 s0, 0x40f, v24
	v_and_or_b32 v15, 0x1ff, v16, v15
	v_lshrrev_b32_e32 v26, 8, v16
	v_and_or_b32 v13, 0xffe, v22, v13
	v_cndmask_b32_e64 v6, v6, v11, s0
	v_cmp_lt_i32_e64 s0, 5, v21
	v_lshrrev_b32_e32 v21, 16, v12
	v_lshrrev_b32_e32 v12, 2, v19
	v_sub_nc_u32_e32 v11, 0x3f1, v23
	v_or_b32_e32 v19, 0x1000, v13
	s_or_b32 s0, s1, s0
	s_waitcnt lgkmcnt(0)
	v_lshrrev_b32_e32 v24, 16, v17
	v_add_co_ci_u32_e64 v12, s0, 0, v12, s0
	v_med3_i32 v11, v11, 0, 13
	v_cmp_ne_u32_e64 s0, 0, v0
	v_bfe_u32 v27, v16, 20, 11
	v_and_or_b32 v6, 0x8000, v21, v6
	v_lshrrev_b32_e32 v16, 16, v16
	v_lshrrev_b32_e32 v22, v11, v19
	v_cndmask_b32_e64 v0, 0, 1, s0
	v_cmp_gt_i32_e64 s0, 31, v20
	v_and_b32_e32 v6, 0xffff, v6
	v_lshlrev_b32_e32 v11, v11, v22
	v_lshl_or_b32 v0, v0, 9, 0x7c00
	v_cndmask_b32_e64 v25, 0x7c00, v12, s0
	v_cmp_ne_u32_e64 s0, 0, v15
	v_mul_f16_sdwa v12, v54, v24 dst_sel:DWORD dst_unused:UNUSED_PAD src0_sel:WORD_1 src1_sel:DWORD
	v_cndmask_b32_e64 v15, 0, 1, s0
	v_cmp_ne_u32_e64 s0, v11, v19
	v_fmac_f16_e32 v12, v54, v17
	v_add_nc_u32_e32 v19, 0xfffffc10, v23
	v_sub_nc_u32_e32 v23, 0x3f1, v27
	v_and_or_b32 v15, 0xffe, v26, v15
	v_cndmask_b32_e64 v11, 0, 1, s0
	v_cvt_f32_f16_e32 v12, v12
	v_lshl_or_b32 v26, v19, 12, v13
	v_med3_i32 v23, v23, 0, 13
	v_or_b32_e32 v28, 0x1000, v15
	v_or_b32_e32 v22, v22, v11
	v_cmp_gt_i32_e64 s0, 1, v19
	v_cvt_f64_f32_e32 v[11:12], v12
	v_mul_f16_sdwa v17, v54, v17 dst_sel:DWORD dst_unused:UNUSED_PAD src0_sel:WORD_1 src1_sel:DWORD
	v_cndmask_b32_e64 v22, v26, v22, s0
	v_cmp_eq_u32_e64 s0, 0x40f, v20
	v_lshrrev_b32_e32 v20, v23, v28
	v_and_b32_e32 v21, 7, v22
	v_cndmask_b32_e64 v0, v25, v0, s0
	v_lshlrev_b32_e32 v23, v23, v20
	v_lshrrev_b32_e32 v22, 2, v22
	v_cmp_lt_i32_e64 s0, 5, v21
	v_and_or_b32 v25, 0x8000, v1, v0
	v_cmp_ne_u32_e64 s1, v23, v28
	v_fma_f16 v0, v54, v24, -v17
	v_add_nc_u32_e32 v17, 0xfffffc10, v27
	v_lshl_or_b32 v6, v25, 16, v6
	v_cndmask_b32_e64 v1, 0, 1, s1
	v_cmp_eq_u32_e64 s1, 3, v21
	v_cvt_f32_f16_e32 v21, v0
	v_lshl_or_b32 v23, v17, 12, v15
	v_or_b32_e32 v20, v20, v1
	v_mul_f64 v[0:1], v[11:12], s[4:5]
	v_cvt_f64_f32_e32 v[11:12], v21
	s_or_b32 s0, s1, s0
	v_add_co_ci_u32_e64 v21, s0, 0, v22, s0
	v_cmp_ne_u32_e64 s0, 0, v13
	v_cndmask_b32_e64 v13, 0, 1, s0
	v_cmp_gt_i32_e64 s0, 1, v17
	v_lshl_or_b32 v13, v13, 9, 0x7c00
	v_cndmask_b32_e64 v20, v23, v20, s0
	v_cmp_gt_i32_e64 s0, 31, v19
	v_and_or_b32 v0, 0x1ff, v1, v0
	v_cndmask_b32_e64 v21, 0x7c00, v21, s0
	v_add_co_u32 v2, s0, v2, s6
	v_add_co_ci_u32_e64 v3, s0, s7, v3, s0
	v_and_b32_e32 v22, 7, v20
	v_cmp_eq_u32_e64 s0, 0x40f, v19
	v_mul_f64 v[11:12], v[11:12], s[4:5]
	v_cmp_ne_u32_e64 s2, 0, v0
	global_store_dword v[2:3], v6, off
	v_cmp_eq_u32_e64 s1, 3, v22
	v_cndmask_b32_e64 v19, v21, v13, s0
	v_cmp_lt_i32_e64 s0, 5, v22
	v_lshrrev_b32_e32 v13, 2, v20
	v_lshrrev_b32_e32 v20, 16, v18
	;; [unrolled: 1-line block ×3, first 2 shown]
	v_cndmask_b32_e64 v0, 0, 1, s2
	v_lshrrev_b32_e32 v14, 8, v1
	v_bfe_u32 v22, v1, 20, 11
	s_or_b32 s0, s1, s0
	v_mul_f16_sdwa v23, v53, v20 dst_sel:DWORD dst_unused:UNUSED_PAD src0_sel:WORD_1 src1_sel:DWORD
	v_add_co_ci_u32_e64 v13, s0, 0, v13, s0
	v_and_or_b32 v0, 0xffe, v14, v0
	v_sub_nc_u32_e32 v14, 0x3f1, v22
	v_cmp_ne_u32_e64 s0, 0, v15
	v_fmac_f16_e32 v23, v53, v18
	v_and_or_b32 v19, 0x8000, v21, v19
	v_or_b32_e32 v24, 0x1000, v0
	v_med3_i32 v25, v14, 0, 13
	v_cndmask_b32_e64 v15, 0, 1, s0
	v_cmp_gt_i32_e64 s0, 31, v17
	v_cvt_f32_f16_e32 v14, v23
	v_and_or_b32 v11, 0x1ff, v12, v11
	v_lshrrev_b32_e32 v26, v25, v24
	v_lshl_or_b32 v15, v15, 9, 0x7c00
	v_cndmask_b32_e64 v23, 0x7c00, v13, s0
	v_cmp_eq_u32_e64 s0, 0x40f, v17
	v_cvt_f64_f32_e32 v[13:14], v14
	v_lshlrev_b32_e32 v17, v25, v26
	v_lshrrev_b32_e32 v21, 8, v12
	v_add_nc_u32_e32 v22, 0xfffffc10, v22
	v_cndmask_b32_e64 v15, v23, v15, s0
	v_cmp_ne_u32_e64 s0, 0, v11
	v_bfe_u32 v23, v12, 20, 11
	v_mul_f16_sdwa v18, v53, v18 dst_sel:DWORD dst_unused:UNUSED_PAD src0_sel:WORD_1 src1_sel:DWORD
	v_and_b32_e32 v19, 0xffff, v19
	v_and_or_b32 v15, 0x8000, v16, v15
	v_cndmask_b32_e64 v11, 0, 1, s0
	v_cmp_ne_u32_e64 s0, v17, v24
	v_lshl_or_b32 v24, v22, 12, v0
	v_fma_f16 v6, v53, v20, -v18
	v_lshl_or_b32 v19, v15, 16, v19
	v_and_or_b32 v11, 0xffe, v21, v11
	v_cndmask_b32_e64 v17, 0, 1, s0
	v_sub_nc_u32_e32 v21, 0x3f1, v23
	v_cmp_gt_i32_e64 s0, 1, v22
	v_cvt_f32_f16_e32 v6, v6
	v_or_b32_e32 v16, 0x1000, v11
	v_or_b32_e32 v17, v26, v17
	v_med3_i32 v21, v21, 0, 13
	v_mul_f64 v[13:14], v[13:14], s[4:5]
	v_add_nc_u32_e32 v20, 0xfffffc10, v23
	v_lshrrev_b32_e32 v1, 16, v1
	v_cndmask_b32_e64 v17, v24, v17, s0
	v_lshrrev_b32_e32 v24, v21, v16
	v_lshrrev_b32_e32 v12, 16, v12
	v_and_b32_e32 v25, 7, v17
	v_lshlrev_b32_e32 v15, v21, v24
	v_lshrrev_b32_e32 v17, 2, v17
	v_cmp_lt_i32_e64 s0, 5, v25
	v_cmp_eq_u32_e64 s1, 3, v25
	v_cmp_ne_u32_e64 s2, v15, v16
	v_cvt_f64_f32_e32 v[15:16], v6
	s_or_b32 s0, s1, s0
	v_cndmask_b32_e64 v18, 0, 1, s2
	v_add_co_ci_u32_e64 v6, s0, 0, v17, s0
	v_cmp_ne_u32_e64 s0, 0, v0
	v_and_or_b32 v13, 0x1ff, v14, v13
	v_or_b32_e32 v17, v24, v18
	v_lshl_or_b32 v18, v20, 12, v11
	v_lshrrev_b32_e32 v23, 8, v14
	v_cndmask_b32_e64 v0, 0, 1, s0
	v_cmp_gt_i32_e64 s0, 1, v20
	v_bfe_u32 v24, v14, 20, 11
	v_lshl_or_b32 v0, v0, 9, 0x7c00
	v_cndmask_b32_e64 v21, v18, v17, s0
	v_cmp_ne_u32_e64 s0, 0, v13
	ds_read2_b32 v[17:18], v10 offset0:124 offset1:166
	v_mul_f64 v[15:16], v[15:16], s[4:5]
	v_and_b32_e32 v25, 7, v21
	v_cndmask_b32_e64 v13, 0, 1, s0
	v_cmp_gt_i32_e64 s0, 31, v22
	v_cmp_eq_u32_e64 s1, 3, v25
	v_and_or_b32 v13, 0xffe, v23, v13
	v_cndmask_b32_e64 v6, 0x7c00, v6, s0
	v_cmp_eq_u32_e64 s0, 0x40f, v22
	v_sub_nc_u32_e32 v23, 0x3f1, v24
	v_cndmask_b32_e64 v0, v6, v0, s0
	v_cmp_lt_i32_e64 s0, 5, v25
	v_med3_i32 v22, v23, 0, 13
	v_or_b32_e32 v6, 0x1000, v13
	v_and_or_b32 v23, 0x8000, v1, v0
	v_lshrrev_b32_e32 v0, 2, v21
	s_or_b32 s0, s1, s0
	v_lshrrev_b32_e32 v25, v22, v6
	s_waitcnt lgkmcnt(0)
	v_lshrrev_b32_e32 v21, 16, v17
	v_bfe_u32 v27, v16, 20, 11
	v_add_co_ci_u32_e64 v0, s0, 0, v0, s0
	v_cmp_ne_u32_e64 s0, 0, v11
	v_lshlrev_b32_e32 v22, v22, v25
	v_mul_f16_sdwa v1, v52, v21 dst_sel:DWORD dst_unused:UNUSED_PAD src0_sel:WORD_1 src1_sel:DWORD
	v_and_b32_e32 v23, 0xffff, v23
	v_cndmask_b32_e64 v11, 0, 1, s0
	v_cmp_gt_i32_e64 s0, 31, v20
	v_fmac_f16_e32 v1, v52, v17
	v_mul_f16_sdwa v17, v52, v17 dst_sel:DWORD dst_unused:UNUSED_PAD src0_sel:WORD_1 src1_sel:DWORD
	v_lshl_or_b32 v11, v11, 9, 0x7c00
	v_cndmask_b32_e64 v26, 0x7c00, v0, s0
	v_and_or_b32 v0, 0x1ff, v16, v15
	v_cmp_ne_u32_e64 s0, v22, v6
	v_cvt_f32_f16_e32 v1, v1
	v_add_nc_u32_e32 v15, 0xfffffc10, v24
	v_lshrrev_b32_e32 v24, 8, v16
	v_lshrrev_b32_e32 v16, 16, v16
	v_cndmask_b32_e64 v6, 0, 1, s0
	v_cmp_ne_u32_e64 s0, 0, v0
	v_cvt_f64_f32_e32 v[0:1], v1
	v_or_b32_e32 v6, v25, v6
	v_cndmask_b32_e64 v22, 0, 1, s0
	v_cmp_eq_u32_e64 s0, 0x40f, v20
	v_lshl_or_b32 v20, v15, 12, v13
	v_and_or_b32 v22, 0xffe, v24, v22
	v_cndmask_b32_e64 v11, v26, v11, s0
	v_sub_nc_u32_e32 v24, 0x3f1, v27
	v_cmp_gt_i32_e64 s0, 1, v15
	v_and_or_b32 v11, 0x8000, v12, v11
	v_med3_i32 v24, v24, 0, 13
	v_cndmask_b32_e64 v6, v20, v6, s0
	v_or_b32_e32 v20, 0x1000, v22
	v_add_co_u32 v2, s0, v2, s6
	v_add_co_ci_u32_e64 v3, s0, s7, v3, s0
	v_lshrrev_b32_e32 v12, v24, v20
	v_and_b32_e32 v25, 7, v6
	v_mul_f64 v[0:1], v[0:1], s[4:5]
	v_lshl_or_b32 v23, v11, 16, v23
	v_fma_f16 v11, v52, v21, -v17
	v_lshlrev_b32_e32 v24, v24, v12
	v_cmp_lt_i32_e64 s0, 5, v25
	v_lshrrev_b32_e32 v6, 2, v6
	global_store_dword v[2:3], v19, off
	v_cvt_f32_f16_e32 v11, v11
	v_cmp_ne_u32_e64 s1, v24, v20
	v_add_nc_u32_e32 v19, 0xfffffc10, v27
	v_cndmask_b32_e64 v17, 0, 1, s1
	v_cmp_eq_u32_e64 s1, 3, v25
	v_lshl_or_b32 v20, v19, 12, v22
	v_or_b32_e32 v17, v12, v17
	s_or_b32 s0, s1, s0
	v_cvt_f64_f32_e32 v[11:12], v11
	v_add_co_ci_u32_e64 v6, s0, 0, v6, s0
	v_cmp_ne_u32_e64 s0, 0, v13
	v_and_or_b32 v0, 0x1ff, v1, v0
	v_lshrrev_b32_e32 v21, 8, v1
	v_bfe_u32 v24, v1, 20, 11
	v_cndmask_b32_e64 v13, 0, 1, s0
	v_cmp_gt_i32_e64 s0, 1, v19
	v_lshl_or_b32 v13, v13, 9, 0x7c00
	v_cndmask_b32_e64 v17, v20, v17, s0
	v_cmp_gt_i32_e64 s0, 31, v15
	v_and_b32_e32 v20, 7, v17
	v_cndmask_b32_e64 v6, 0x7c00, v6, s0
	v_cmp_ne_u32_e64 s0, 0, v0
	v_mul_f64 v[11:12], v[11:12], s[4:5]
	v_cmp_eq_u32_e64 s1, 3, v20
	v_cndmask_b32_e64 v0, 0, 1, s0
	v_cmp_eq_u32_e64 s0, 0x40f, v15
	v_lshrrev_b32_e32 v15, 2, v17
	v_and_or_b32 v0, 0xffe, v21, v0
	v_cndmask_b32_e64 v6, v6, v13, s0
	v_cmp_lt_i32_e64 s0, 5, v20
	v_lshrrev_b32_e32 v13, 16, v14
	v_sub_nc_u32_e32 v14, 0x3f1, v24
	v_or_b32_e32 v17, 0x1000, v0
	v_lshrrev_b32_e32 v20, 16, v18
	s_or_b32 s0, s1, s0
	v_and_or_b32 v6, 0x8000, v13, v6
	v_add_co_ci_u32_e64 v15, s0, 0, v15, s0
	v_med3_i32 v14, v14, 0, 13
	v_cmp_ne_u32_e64 s0, 0, v22
	v_mul_f16_sdwa v25, v51, v20 dst_sel:DWORD dst_unused:UNUSED_PAD src0_sel:WORD_1 src1_sel:DWORD
	v_and_or_b32 v11, 0x1ff, v12, v11
	v_and_b32_e32 v6, 0xffff, v6
	v_lshrrev_b32_e32 v22, v14, v17
	v_cndmask_b32_e64 v21, 0, 1, s0
	v_cmp_gt_i32_e64 s0, 31, v19
	v_fmac_f16_e32 v25, v51, v18
	v_mul_f16_sdwa v18, v51, v18 dst_sel:DWORD dst_unused:UNUSED_PAD src0_sel:WORD_1 src1_sel:DWORD
	v_lshlrev_b32_e32 v13, v14, v22
	v_lshl_or_b32 v21, v21, 9, 0x7c00
	v_cndmask_b32_e64 v15, 0x7c00, v15, s0
	v_cmp_eq_u32_e64 s0, 0x40f, v19
	v_cvt_f32_f16_e32 v14, v25
	v_lshrrev_b32_e32 v19, 8, v12
	v_fma_f16 v18, v51, v20, -v18
	v_cndmask_b32_e64 v15, v15, v21, s0
	v_cmp_ne_u32_e64 s0, v13, v17
	v_cvt_f64_f32_e32 v[13:14], v14
	v_add_nc_u32_e32 v21, 0xfffffc10, v24
	v_bfe_u32 v24, v12, 20, 11
	v_and_or_b32 v15, 0x8000, v16, v15
	v_cndmask_b32_e64 v17, 0, 1, s0
	v_cmp_ne_u32_e64 s0, 0, v11
	v_cvt_f32_f16_e32 v18, v18
	v_lshl_or_b32 v6, v15, 16, v6
	v_or_b32_e32 v16, v22, v17
	v_cndmask_b32_e64 v11, 0, 1, s0
	v_lshl_or_b32 v17, v21, 12, v0
	v_cmp_gt_i32_e64 s0, 1, v21
	v_and_or_b32 v11, 0xffe, v19, v11
	v_sub_nc_u32_e32 v19, 0x3f1, v24
	v_cndmask_b32_e64 v17, v17, v16, s0
	v_add_co_u32 v2, s0, v2, s6
	v_or_b32_e32 v22, 0x1000, v11
	v_med3_i32 v19, v19, 0, 13
	v_add_co_ci_u32_e64 v3, s0, s7, v3, s0
	v_and_b32_e32 v25, 7, v17
	v_mul_f64 v[13:14], v[13:14], s[4:5]
	v_lshrrev_b32_e32 v26, v19, v22
	v_add_co_u32 v15, s0, v2, s6
	v_add_co_ci_u32_e64 v16, s0, s7, v3, s0
	v_lshlrev_b32_e32 v19, v19, v26
	v_cmp_lt_i32_e64 s0, 5, v25
	v_cmp_eq_u32_e64 s1, 3, v25
	v_lshrrev_b32_e32 v17, 2, v17
	v_cmp_ne_u32_e64 s2, v19, v22
	v_add_nc_u32_e32 v22, 0xfffffc10, v24
	s_or_b32 s0, s1, s0
	v_add_co_ci_u32_e64 v24, s0, 0, v17, s0
	v_cndmask_b32_e64 v19, 0, 1, s2
	v_cmp_ne_u32_e64 s0, 0, v0
	v_cvt_f64_f32_e32 v[17:18], v18
	v_or_b32_e32 v25, v26, v19
	v_lshl_or_b32 v26, v22, 12, v11
	v_cndmask_b32_e64 v0, 0, 1, s0
	v_cmp_gt_i32_e64 s0, 1, v22
	v_and_or_b32 v13, 0x1ff, v14, v13
	ds_read2_b32 v[19:20], v9 offset0:80 offset1:122
	v_lshrrev_b32_e32 v27, 8, v14
	v_lshl_or_b32 v0, v0, 9, 0x7c00
	v_cndmask_b32_e64 v25, v26, v25, s0
	v_cmp_gt_i32_e64 s0, 31, v21
	v_bfe_u32 v28, v14, 20, 11
	global_store_dword v[2:3], v23, off
	global_store_dword v[15:16], v6, off
	v_lshrrev_b32_e32 v14, 16, v14
	v_and_b32_e32 v26, 7, v25
	v_cndmask_b32_e64 v24, 0x7c00, v24, s0
	v_cmp_ne_u32_e64 s0, 0, v13
	v_cmp_eq_u32_e64 s1, 3, v26
	v_cndmask_b32_e64 v13, 0, 1, s0
	v_cmp_eq_u32_e64 s0, 0x40f, v21
	v_and_or_b32 v13, 0xffe, v27, v13
	v_cndmask_b32_e64 v21, v24, v0, s0
	v_cmp_lt_i32_e64 s0, 5, v26
	v_lshrrev_b32_e32 v24, 16, v1
	v_mul_f64 v[0:1], v[17:18], s[4:5]
	v_lshrrev_b32_e32 v18, 2, v25
	v_sub_nc_u32_e32 v27, 0x3f1, v28
	s_or_b32 s0, s1, s0
	v_or_b32_e32 v25, 0x1000, v13
	s_waitcnt lgkmcnt(0)
	v_lshrrev_b32_e32 v17, 16, v19
	v_add_co_ci_u32_e64 v18, s0, 0, v18, s0
	v_med3_i32 v26, v27, 0, 13
	v_cmp_ne_u32_e64 s0, 0, v11
	v_mul_f16_sdwa v27, v50, v17 dst_sel:DWORD dst_unused:UNUSED_PAD src0_sel:WORD_1 src1_sel:DWORD
	v_and_or_b32 v21, 0x8000, v24, v21
	v_lshrrev_b32_e32 v29, v26, v25
	v_cndmask_b32_e64 v11, 0, 1, s0
	v_cmp_gt_i32_e64 s0, 31, v22
	v_fmac_f16_e32 v27, v50, v19
	v_and_b32_e32 v21, 0xffff, v21
	v_lshlrev_b32_e32 v24, v26, v29
	v_lshl_or_b32 v11, v11, 9, 0x7c00
	v_cndmask_b32_e64 v18, 0x7c00, v18, s0
	v_cmp_eq_u32_e64 s0, 0x40f, v22
	v_and_or_b32 v0, 0x1ff, v1, v0
	v_cvt_f32_f16_e32 v26, v27
	v_lshrrev_b32_e32 v22, 16, v12
	v_bfe_u32 v27, v1, 20, 11
	v_cndmask_b32_e64 v18, v18, v11, s0
	v_cmp_ne_u32_e64 s0, v24, v25
	v_cvt_f64_f32_e32 v[11:12], v26
	v_add_nc_u32_e32 v25, 0xfffffc10, v28
	v_lshrrev_b32_e32 v26, 8, v1
	v_and_or_b32 v18, 0x8000, v22, v18
	v_cndmask_b32_e64 v24, 0, 1, s0
	v_cmp_ne_u32_e64 s0, 0, v0
	v_lshl_or_b32 v6, v18, 16, v21
	v_or_b32_e32 v22, v29, v24
	v_cndmask_b32_e64 v0, 0, 1, s0
	v_lshl_or_b32 v24, v25, 12, v13
	v_cmp_gt_i32_e64 s0, 1, v25
	v_and_or_b32 v0, 0xffe, v26, v0
	v_sub_nc_u32_e32 v26, 0x3f1, v27
	v_cndmask_b32_e64 v22, v24, v22, s0
	v_or_b32_e32 v24, 0x1000, v0
	v_med3_i32 v26, v26, 0, 13
	v_and_b32_e32 v18, 7, v22
	v_mul_f64 v[2:3], v[11:12], s[4:5]
	v_add_co_u32 v11, s0, v15, s6
	v_lshrrev_b32_e32 v21, v26, v24
	v_add_co_ci_u32_e64 v12, s0, s7, v16, s0
	v_cmp_lt_i32_e64 s0, 5, v18
	v_cmp_eq_u32_e64 s1, 3, v18
	v_lshlrev_b32_e32 v15, v26, v21
	v_mul_f16_sdwa v16, v50, v19 dst_sel:DWORD dst_unused:UNUSED_PAD src0_sel:WORD_1 src1_sel:DWORD
	v_lshrrev_b32_e32 v18, 2, v22
	global_store_dword v[11:12], v6, off
	s_or_b32 s0, s1, s0
	v_cmp_ne_u32_e64 s2, v15, v24
	v_fma_f16 v16, v50, v17, -v16
	v_add_co_ci_u32_e64 v18, s0, 0, v18, s0
	v_add_nc_u32_e32 v17, 0xfffffc10, v27
	v_cndmask_b32_e64 v15, 0, 1, s2
	v_cmp_ne_u32_e64 s0, 0, v13
	v_cvt_f32_f16_e32 v16, v16
	v_and_or_b32 v2, 0x1ff, v3, v2
	v_or_b32_e32 v19, v21, v15
	v_lshl_or_b32 v21, v17, 12, v0
	v_cndmask_b32_e64 v13, 0, 1, s0
	v_cmp_gt_i32_e64 s0, 1, v17
	v_cvt_f64_f32_e32 v[15:16], v16
	v_lshrrev_b32_e32 v22, 8, v3
	v_bfe_u32 v23, v3, 20, 11
	v_lshl_or_b32 v13, v13, 9, 0x7c00
	v_cndmask_b32_e64 v19, v21, v19, s0
	v_cmp_gt_i32_e64 s0, 31, v25
	v_and_b32_e32 v21, 7, v19
	v_cndmask_b32_e64 v18, 0x7c00, v18, s0
	v_cmp_ne_u32_e64 s0, 0, v2
	v_lshrrev_b32_e32 v19, 2, v19
	v_cmp_eq_u32_e64 s1, 3, v21
	v_cndmask_b32_e64 v2, 0, 1, s0
	v_cmp_eq_u32_e64 s0, 0x40f, v25
	v_and_or_b32 v2, 0xffe, v22, v2
	v_cndmask_b32_e64 v13, v18, v13, s0
	v_cmp_lt_i32_e64 s0, 5, v21
	v_lshrrev_b32_e32 v21, 16, v20
	v_mul_f64 v[15:16], v[15:16], s[4:5]
	v_sub_nc_u32_e32 v18, 0x3f1, v23
	v_or_b32_e32 v22, 0x1000, v2
	s_or_b32 s0, s1, s0
	v_mul_f16_sdwa v24, v49, v21 dst_sel:DWORD dst_unused:UNUSED_PAD src0_sel:WORD_1 src1_sel:DWORD
	v_add_co_ci_u32_e64 v19, s0, 0, v19, s0
	v_cmp_ne_u32_e64 s0, 0, v0
	v_med3_i32 v18, v18, 0, 13
	v_fmac_f16_e32 v24, v49, v20
	v_and_or_b32 v13, 0x8000, v14, v13
	v_mul_f16_sdwa v20, v49, v20 dst_sel:DWORD dst_unused:UNUSED_PAD src0_sel:WORD_1 src1_sel:DWORD
	v_cndmask_b32_e64 v0, 0, 1, s0
	v_cmp_gt_i32_e64 s0, 31, v17
	v_lshrrev_b32_e32 v25, v18, v22
	v_cvt_f32_f16_e32 v24, v24
	v_and_b32_e32 v13, 0xffff, v13
	v_lshl_or_b32 v0, v0, 9, 0x7c00
	v_cndmask_b32_e64 v19, 0x7c00, v19, s0
	v_cmp_eq_u32_e64 s0, 0x40f, v17
	v_lshlrev_b32_e32 v18, v18, v25
	v_and_or_b32 v15, 0x1ff, v16, v15
	v_cndmask_b32_e64 v17, v19, v0, s0
	v_lshrrev_b32_e32 v19, 16, v1
	v_cvt_f64_f32_e32 v[0:1], v24
	v_cmp_ne_u32_e64 s0, v18, v22
	v_add_nc_u32_e32 v22, 0xfffffc10, v23
	v_bfe_u32 v23, v16, 20, 11
	v_and_or_b32 v14, 0x8000, v19, v17
	v_lshrrev_b32_e32 v19, 8, v16
	v_cndmask_b32_e64 v18, 0, 1, s0
	v_cmp_ne_u32_e64 s0, 0, v15
	v_sub_nc_u32_e32 v6, 0x3f1, v23
	v_lshl_or_b32 v13, v14, 16, v13
	v_lshrrev_b32_e32 v16, 16, v16
	v_or_b32_e32 v17, v25, v18
	v_cndmask_b32_e64 v15, 0, 1, s0
	v_lshl_or_b32 v18, v22, 12, v2
	v_cmp_gt_i32_e64 s0, 1, v22
	v_med3_i32 v6, v6, 0, 13
	v_and_or_b32 v15, 0xffe, v19, v15
	v_cndmask_b32_e64 v17, v18, v17, s0
	v_add_co_u32 v11, s0, v11, s6
	v_mul_f64 v[0:1], v[0:1], s[4:5]
	v_or_b32_e32 v18, 0x1000, v15
	v_and_b32_e32 v14, 7, v17
	v_add_co_ci_u32_e64 v12, s0, s7, v12, s0
	v_lshrrev_b32_e32 v19, v6, v18
	v_cmp_lt_i32_e64 s0, 5, v14
	v_cmp_eq_u32_e64 s1, 3, v14
	global_store_dword v[11:12], v13, off
	v_lshrrev_b32_e32 v13, 2, v17
	v_lshlrev_b32_e32 v6, v6, v19
	v_fma_f16 v17, v49, v21, -v20
	s_or_b32 s0, s1, s0
	v_add_nc_u32_e32 v21, 0xfffffc10, v23
	v_add_co_ci_u32_e64 v20, s0, 0, v13, s0
	v_cmp_ne_u32_e64 s0, v6, v18
	ds_read2_b32 v[13:14], v9 offset0:164 offset1:206
	v_cvt_f32_f16_e32 v17, v17
	v_cndmask_b32_e64 v6, 0, 1, s0
	v_and_or_b32 v0, 0x1ff, v1, v0
	v_cmp_gt_i32_e64 s0, 31, v22
	v_cvt_f64_f32_e32 v[17:18], v17
	v_lshrrev_b32_e32 v23, 8, v1
	v_or_b32_e32 v6, v19, v6
	v_lshl_or_b32 v19, v21, 12, v15
	v_cndmask_b32_e64 v20, 0x7c00, v20, s0
	v_cmp_ne_u32_e64 s0, 0, v0
	v_bfe_u32 v24, v1, 20, 11
	v_cndmask_b32_e64 v0, 0, 1, s0
	v_cmp_ne_u32_e64 s0, 0, v2
	v_and_or_b32 v0, 0xffe, v23, v0
	v_cndmask_b32_e64 v2, 0, 1, s0
	v_cmp_gt_i32_e64 s0, 1, v21
	s_waitcnt lgkmcnt(0)
	v_lshrrev_b32_e32 v23, 16, v13
	v_or_b32_e32 v26, 0x1000, v0
	v_lshl_or_b32 v2, v2, 9, 0x7c00
	v_cndmask_b32_e64 v6, v19, v6, s0
	v_sub_nc_u32_e32 v19, 0x3f1, v24
	v_cmp_eq_u32_e64 s0, 0x40f, v22
	v_mul_f16_sdwa v27, v48, v23 dst_sel:DWORD dst_unused:UNUSED_PAD src0_sel:WORD_1 src1_sel:DWORD
	v_mul_f64 v[17:18], v[17:18], s[4:5]
	v_and_b32_e32 v25, 7, v6
	v_med3_i32 v19, v19, 0, 13
	v_cndmask_b32_e64 v20, v20, v2, s0
	v_lshrrev_b32_e32 v2, 2, v6
	v_fmac_f16_e32 v27, v48, v13
	v_cmp_lt_i32_e64 s0, 5, v25
	v_cmp_eq_u32_e64 s1, 3, v25
	v_lshrrev_b32_e32 v22, v19, v26
	v_lshrrev_b32_e32 v25, 16, v3
	v_cvt_f32_f16_e32 v3, v27
	v_add_nc_u32_e32 v24, 0xfffffc10, v24
	s_or_b32 s0, s1, s0
	v_lshlrev_b32_e32 v6, v19, v22
	v_add_co_ci_u32_e64 v19, s0, 0, v2, s0
	v_cmp_ne_u32_e64 s0, 0, v15
	v_cvt_f64_f32_e32 v[2:3], v3
	v_and_or_b32 v20, 0x8000, v25, v20
	v_mul_f16_sdwa v13, v48, v13 dst_sel:DWORD dst_unused:UNUSED_PAD src0_sel:WORD_1 src1_sel:DWORD
	v_lshrrev_b32_e32 v27, 16, v14
	v_cndmask_b32_e64 v15, 0, 1, s0
	v_cmp_ne_u32_e64 s0, v6, v26
	v_and_or_b32 v17, 0x1ff, v18, v17
	v_and_b32_e32 v20, 0xffff, v20
	v_fma_f16 v13, v48, v23, -v13
	v_lshl_or_b32 v15, v15, 9, 0x7c00
	v_cndmask_b32_e64 v6, 0, 1, s0
	v_cmp_gt_i32_e64 s0, 31, v21
	v_cvt_f32_f16_e32 v13, v13
	v_or_b32_e32 v6, v22, v6
	v_cndmask_b32_e64 v19, 0x7c00, v19, s0
	v_cmp_eq_u32_e64 s0, 0x40f, v21
	v_lshl_or_b32 v22, v24, 12, v0
	v_bfe_u32 v21, v18, 20, 11
	v_cndmask_b32_e64 v15, v19, v15, s0
	v_cmp_gt_i32_e64 s0, 1, v24
	v_lshrrev_b32_e32 v19, 8, v18
	v_mul_f64 v[2:3], v[2:3], s[4:5]
	v_lshrrev_b32_e32 v18, 16, v18
	v_and_or_b32 v15, 0x8000, v16, v15
	v_cndmask_b32_e64 v6, v22, v6, s0
	v_cmp_ne_u32_e64 s0, 0, v17
	v_lshl_or_b32 v20, v15, 16, v20
	v_and_b32_e32 v22, 7, v6
	v_cndmask_b32_e64 v17, 0, 1, s0
	v_lshrrev_b32_e32 v6, 2, v6
	v_cmp_lt_i32_e64 s0, 5, v22
	v_and_or_b32 v17, 0xffe, v19, v17
	v_sub_nc_u32_e32 v19, 0x3f1, v21
	v_cmp_eq_u32_e64 s1, 3, v22
	v_or_b32_e32 v16, 0x1000, v17
	v_med3_i32 v19, v19, 0, 13
	s_or_b32 s0, s1, s0
	v_and_or_b32 v2, 0x1ff, v3, v2
	v_add_co_ci_u32_e64 v6, s0, 0, v6, s0
	v_lshrrev_b32_e32 v22, v19, v16
	v_cmp_gt_i32_e64 s0, 31, v24
	v_bfe_u32 v23, v3, 20, 11
	v_lshlrev_b32_e32 v15, v19, v22
	v_cndmask_b32_e64 v6, 0x7c00, v6, s0
	v_cmp_ne_u32_e64 s0, v15, v16
	v_cvt_f64_f32_e32 v[15:16], v13
	v_add_nc_u32_e32 v13, 0xfffffc10, v21
	v_lshrrev_b32_e32 v21, 8, v3
	v_cndmask_b32_e64 v19, 0, 1, s0
	v_cmp_ne_u32_e64 s0, 0, v2
	v_or_b32_e32 v19, v22, v19
	v_cndmask_b32_e64 v2, 0, 1, s0
	v_cmp_ne_u32_e64 s0, 0, v0
	v_lshl_or_b32 v22, v13, 12, v17
	v_and_or_b32 v2, 0xffe, v21, v2
	v_cndmask_b32_e64 v0, 0, 1, s0
	v_cmp_gt_i32_e64 s0, 1, v13
	v_sub_nc_u32_e32 v21, 0x3f1, v23
	v_lshl_or_b32 v0, v0, 9, 0x7c00
	v_cndmask_b32_e64 v19, v22, v19, s0
	v_cmp_eq_u32_e64 s0, 0x40f, v24
	v_or_b32_e32 v22, 0x1000, v2
	v_med3_i32 v21, v21, 0, 13
	v_lshrrev_b32_e32 v24, 16, v1
	v_and_b32_e32 v25, 7, v19
	v_cndmask_b32_e64 v6, v6, v0, s0
	v_mul_f64 v[0:1], v[15:16], s[4:5]
	v_lshrrev_b32_e32 v26, v21, v22
	v_add_co_u32 v11, s0, v11, s6
	v_add_co_ci_u32_e64 v12, s0, s7, v12, s0
	v_lshlrev_b32_e32 v16, v21, v26
	v_mul_f16_sdwa v15, v47, v27 dst_sel:DWORD dst_unused:UNUSED_PAD src0_sel:WORD_1 src1_sel:DWORD
	v_cmp_lt_i32_e64 s0, 5, v25
	v_cmp_eq_u32_e64 s1, 3, v25
	v_lshrrev_b32_e32 v19, 2, v19
	v_cmp_ne_u32_e64 s2, v16, v22
	v_fmac_f16_e32 v15, v47, v14
	v_add_nc_u32_e32 v21, 0xfffffc10, v23
	s_or_b32 s0, s1, s0
	v_and_or_b32 v6, 0x8000, v24, v6
	v_add_co_ci_u32_e64 v19, s0, 0, v19, s0
	v_cndmask_b32_e64 v16, 0, 1, s2
	v_cmp_ne_u32_e64 s0, 0, v17
	v_cvt_f32_f16_e32 v15, v15
	v_lshl_or_b32 v23, v21, 12, v2
	v_and_or_b32 v0, 0x1ff, v1, v0
	v_or_b32_e32 v22, v26, v16
	v_cndmask_b32_e64 v17, 0, 1, s0
	v_cmp_gt_i32_e64 s0, 1, v21
	v_cvt_f64_f32_e32 v[15:16], v15
	v_bfe_u32 v24, v1, 20, 11
	v_and_b32_e32 v6, 0xffff, v6
	v_lshl_or_b32 v17, v17, 9, 0x7c00
	v_cndmask_b32_e64 v22, v23, v22, s0
	v_cmp_ne_u32_e64 s0, 0, v0
	v_lshrrev_b32_e32 v23, 8, v1
	v_mul_f16_sdwa v14, v47, v14 dst_sel:DWORD dst_unused:UNUSED_PAD src0_sel:WORD_1 src1_sel:DWORD
	v_and_b32_e32 v25, 7, v22
	v_cndmask_b32_e64 v0, 0, 1, s0
	v_cmp_gt_i32_e64 s0, 31, v13
	v_fma_f16 v14, v47, v27, -v14
	v_cmp_eq_u32_e64 s1, 3, v25
	v_and_or_b32 v0, 0xffe, v23, v0
	v_cndmask_b32_e64 v19, 0x7c00, v19, s0
	v_cmp_eq_u32_e64 s0, 0x40f, v13
	ds_read_b32 v23, v45 offset:2016
	v_cndmask_b32_e64 v13, v19, v17, s0
	v_sub_nc_u32_e32 v17, 0x3f1, v24
	v_cmp_lt_i32_e64 s0, 5, v25
	v_mul_f64 v[15:16], v[15:16], s[4:5]
	v_or_b32_e32 v19, 0x1000, v0
	v_and_or_b32 v13, 0x8000, v18, v13
	v_lshrrev_b32_e32 v18, 2, v22
	v_med3_i32 v17, v17, 0, 13
	s_or_b32 s0, s1, s0
	v_lshl_or_b32 v6, v13, 16, v6
	v_add_co_ci_u32_e64 v18, s0, 0, v18, s0
	v_lshrrev_b32_e32 v22, v17, v19
	v_cmp_ne_u32_e64 s0, 0, v2
	v_lshlrev_b32_e32 v13, v17, v22
	v_cndmask_b32_e64 v2, 0, 1, s0
	v_cmp_gt_i32_e64 s0, 31, v21
	v_lshl_or_b32 v2, v2, 9, 0x7c00
	v_cndmask_b32_e64 v17, 0x7c00, v18, s0
	v_cmp_ne_u32_e64 s0, v13, v19
	v_and_or_b32 v15, 0x1ff, v16, v15
	v_add_nc_u32_e32 v19, 0xfffffc10, v24
	v_lshrrev_b32_e32 v24, 16, v3
	v_cndmask_b32_e64 v13, 0, 1, s0
	v_cmp_eq_u32_e64 s0, 0x40f, v21
	v_lshl_or_b32 v18, v19, 12, v0
	v_lshrrev_b32_e32 v21, 8, v16
	v_cndmask_b32_e64 v17, v17, v2, s0
	v_cmp_ne_u32_e64 s0, 0, v15
	v_or_b32_e32 v2, v22, v13
	v_cvt_f32_f16_e32 v13, v14
	v_bfe_u32 v22, v16, 20, 11
	v_and_or_b32 v24, 0x8000, v24, v17
	v_cndmask_b32_e64 v15, 0, 1, s0
	v_cmp_gt_i32_e64 s0, 1, v19
	v_cvt_f64_f32_e32 v[13:14], v13
	v_lshrrev_b32_e32 v16, 16, v16
	v_and_or_b32 v15, 0xffe, v21, v15
	v_cndmask_b32_e64 v18, v18, v2, s0
	v_sub_nc_u32_e32 v2, 0x3f1, v22
	s_waitcnt lgkmcnt(0)
	v_lshrrev_b32_e32 v21, 16, v23
	v_add_nc_u32_e32 v22, 0xfffffc10, v22
	v_or_b32_e32 v26, 0x1000, v15
	v_and_b32_e32 v25, 7, v18
	v_med3_i32 v27, v2, 0, 13
	v_mul_f16_sdwa v28, v46, v21 dst_sel:DWORD dst_unused:UNUSED_PAD src0_sel:WORD_1 src1_sel:DWORD
	v_add_co_u32 v2, s0, v11, s6
	v_add_co_ci_u32_e64 v3, s0, s7, v12, s0
	v_lshrrev_b32_e32 v29, v27, v26
	v_fmac_f16_e32 v28, v46, v23
	v_cmp_lt_i32_e64 s0, 5, v25
	v_cmp_eq_u32_e64 s1, 3, v25
	v_lshrrev_b32_e32 v17, 2, v18
	v_lshlrev_b32_e32 v25, v27, v29
	v_cvt_f32_f16_e32 v18, v28
	v_mul_f64 v[13:14], v[13:14], s[4:5]
	s_or_b32 s0, s1, s0
	v_mul_f16_sdwa v23, v46, v23 dst_sel:DWORD dst_unused:UNUSED_PAD src0_sel:WORD_1 src1_sel:DWORD
	v_add_co_ci_u32_e64 v27, s0, 0, v17, s0
	v_cmp_ne_u32_e64 s0, v25, v26
	v_cvt_f64_f32_e32 v[17:18], v18
	v_lshl_or_b32 v26, v22, 12, v15
	v_fma_f16 v21, v46, v21, -v23
	v_cndmask_b32_e64 v25, 0, 1, s0
	v_cmp_ne_u32_e64 s0, 0, v0
	v_cvt_f32_f16_e32 v21, v21
	v_or_b32_e32 v25, v29, v25
	v_cndmask_b32_e64 v0, 0, 1, s0
	v_cmp_gt_i32_e64 s0, 31, v19
	v_lshl_or_b32 v0, v0, 9, 0x7c00
	v_cndmask_b32_e64 v23, 0x7c00, v27, s0
	v_cmp_gt_i32_e64 s0, 1, v22
	v_and_or_b32 v13, 0x1ff, v14, v13
	v_bfe_u32 v27, v14, 20, 11
	v_cndmask_b32_e64 v25, v26, v25, s0
	v_cmp_eq_u32_e64 s0, 0x40f, v19
	v_mul_f64 v[17:18], v[17:18], s[4:5]
	v_lshrrev_b32_e32 v26, 8, v14
	v_lshrrev_b32_e32 v14, 16, v14
	v_cndmask_b32_e64 v19, v23, v0, s0
	v_lshrrev_b32_e32 v23, 16, v1
	v_cvt_f64_f32_e32 v[0:1], v21
	v_cmp_ne_u32_e64 s0, 0, v13
	v_and_b32_e32 v21, 7, v25
	v_and_or_b32 v19, 0x8000, v23, v19
	v_and_b32_e32 v23, 0xffff, v24
	v_cndmask_b32_e64 v13, 0, 1, s0
	v_cmp_lt_i32_e64 s0, 5, v21
	v_cmp_eq_u32_e64 s1, 3, v21
	v_lshrrev_b32_e32 v21, 2, v25
	v_sub_nc_u32_e32 v24, 0x3f1, v27
	v_and_or_b32 v13, 0xffe, v26, v13
	v_lshl_or_b32 v19, v19, 16, v23
	s_or_b32 s0, s1, s0
	v_add_co_ci_u32_e64 v21, s0, 0, v21, s0
	v_or_b32_e32 v23, 0x1000, v13
	v_med3_i32 v24, v24, 0, 13
	v_cmp_ne_u32_e64 s0, 0, v15
	v_and_or_b32 v17, 0x1ff, v18, v17
	v_lshrrev_b32_e32 v26, 8, v18
	v_mul_f64 v[0:1], v[0:1], s[4:5]
	v_lshrrev_b32_e32 v25, v24, v23
	v_cndmask_b32_e64 v15, 0, 1, s0
	v_cmp_gt_i32_e64 s0, 31, v22
	v_bfe_u32 v28, v18, 20, 11
	v_lshrrev_b32_e32 v18, 16, v18
	v_lshlrev_b32_e32 v24, v24, v25
	v_lshl_or_b32 v15, v15, 9, 0x7c00
	v_cndmask_b32_e64 v21, 0x7c00, v21, s0
	v_cmp_ne_u32_e64 s0, 0, v17
	v_cndmask_b32_e64 v17, 0, 1, s0
	v_cmp_ne_u32_e64 s0, v24, v23
	v_add_nc_u32_e32 v24, 0xfffffc10, v27
	v_and_or_b32 v17, 0xffe, v26, v17
	v_cndmask_b32_e64 v23, 0, 1, s0
	v_sub_nc_u32_e32 v26, 0x3f1, v28
	v_cmp_eq_u32_e64 s0, 0x40f, v22
	v_lshl_or_b32 v22, v24, 12, v13
	v_and_or_b32 v0, 0x1ff, v1, v0
	v_bfe_u32 v27, v1, 20, 11
	v_cndmask_b32_e64 v15, v21, v15, s0
	v_or_b32_e32 v21, v25, v23
	v_or_b32_e32 v23, 0x1000, v17
	v_med3_i32 v25, v26, 0, 13
	v_cmp_gt_i32_e64 s0, 1, v24
	v_lshrrev_b32_e32 v26, 8, v1
	v_and_or_b32 v15, 0x8000, v16, v15
	v_sub_nc_u32_e32 v16, 0x3f1, v27
	v_lshrrev_b32_e32 v1, 16, v1
	v_cndmask_b32_e64 v21, v22, v21, s0
	v_lshrrev_b32_e32 v22, v25, v23
	v_cmp_ne_u32_e64 s0, 0, v0
	v_med3_i32 v16, v16, 0, 13
	v_and_b32_e32 v15, 0xffff, v15
	v_and_b32_e32 v29, 7, v21
	v_lshlrev_b32_e32 v25, v25, v22
	v_cndmask_b32_e64 v0, 0, 1, s0
	v_lshrrev_b32_e32 v21, 2, v21
	v_cmp_lt_i32_e64 s0, 5, v29
	v_cmp_ne_u32_e64 s1, v25, v23
	v_and_or_b32 v0, 0xffe, v26, v0
	v_add_nc_u32_e32 v26, 0xfffffc10, v28
	v_cndmask_b32_e64 v23, 0, 1, s1
	v_cmp_eq_u32_e64 s1, 3, v29
	v_or_b32_e32 v25, 0x1000, v0
	v_lshl_or_b32 v28, v26, 12, v17
	v_or_b32_e32 v22, v22, v23
	s_or_b32 s0, s1, s0
	v_lshrrev_b32_e32 v23, v16, v25
	v_add_co_ci_u32_e64 v21, s0, 0, v21, s0
	v_cmp_gt_i32_e64 s0, 1, v26
	v_lshlrev_b32_e32 v16, v16, v23
	v_cndmask_b32_e64 v22, v28, v22, s0
	v_cmp_ne_u32_e64 s0, 0, v13
	v_cndmask_b32_e64 v13, 0, 1, s0
	v_cmp_ne_u32_e64 s0, v16, v25
	v_add_nc_u32_e32 v25, 0xfffffc10, v27
	v_and_b32_e32 v27, 7, v22
	v_lshl_or_b32 v13, v13, 9, 0x7c00
	v_cndmask_b32_e64 v16, 0, 1, s0
	v_cmp_gt_i32_e64 s0, 31, v24
	v_cmp_gt_i32_e64 s2, 1, v25
	v_cmp_eq_u32_e64 s1, 3, v27
	v_or_b32_e32 v16, v23, v16
	v_lshl_or_b32 v23, v25, 12, v0
	v_cndmask_b32_e64 v21, 0x7c00, v21, s0
	v_cmp_lt_i32_e64 s0, 5, v27
	v_cndmask_b32_e64 v16, v23, v16, s2
	v_cmp_eq_u32_e64 s2, 0x40f, v24
	s_or_b32 s0, s1, s0
	v_cndmask_b32_e64 v13, v21, v13, s2
	v_lshrrev_b32_e32 v21, 2, v22
	v_and_b32_e32 v22, 7, v16
	v_lshrrev_b32_e32 v16, 2, v16
	v_cmp_gt_i32_e64 s2, 31, v26
	v_add_co_ci_u32_e64 v21, s0, 0, v21, s0
	v_cmp_ne_u32_e64 s0, 0, v17
	v_cmp_eq_u32_e64 s1, 3, v22
	v_cndmask_b32_e64 v21, 0x7c00, v21, s2
	v_cndmask_b32_e64 v17, 0, 1, s0
	v_cmp_lt_i32_e64 s0, 5, v22
	v_lshl_or_b32 v17, v17, 9, 0x7c00
	s_or_b32 s0, s1, s0
	v_add_co_ci_u32_e64 v16, s0, 0, v16, s0
	v_cmp_ne_u32_e64 s0, 0, v0
	v_cndmask_b32_e64 v0, 0, 1, s0
	v_cmp_eq_u32_e64 s0, 0x40f, v26
	v_lshl_or_b32 v0, v0, 9, 0x7c00
	v_cndmask_b32_e64 v17, v21, v17, s0
	v_cmp_gt_i32_e64 s0, 31, v25
	v_and_or_b32 v21, 0x8000, v14, v13
	v_and_or_b32 v17, 0x8000, v18, v17
	v_cndmask_b32_e64 v16, 0x7c00, v16, s0
	v_cmp_eq_u32_e64 s0, 0x40f, v25
	v_lshl_or_b32 v18, v21, 16, v15
	v_cndmask_b32_e64 v0, v16, v0, s0
	v_add_co_u32 v13, s0, v2, s6
	v_add_co_ci_u32_e64 v14, s0, s7, v3, s0
	v_and_or_b32 v0, 0x8000, v1, v0
	v_and_b32_e32 v1, 0xffff, v17
	v_add_co_u32 v15, s0, v13, s6
	v_add_co_ci_u32_e64 v16, s0, s7, v14, s0
	v_lshl_or_b32 v17, v0, 16, v1
	v_add_co_u32 v0, s0, v15, s6
	v_add_co_ci_u32_e64 v1, s0, s7, v16, s0
	global_store_dword v[11:12], v20, off
	global_store_dword v[2:3], v6, off
	;; [unrolled: 1-line block ×5, first 2 shown]
	s_and_b32 exec_lo, exec_lo, vcc_lo
	s_cbranch_execz .LBB0_23
; %bb.22:
	global_load_dword v2, v[4:5], off offset:156
	ds_read_b32 v3, v61 offset:156
	v_mad_u64_u32 v[0:1], null, 0xfffff8bc, s8, v[0:1]
	s_waitcnt lgkmcnt(0)
	v_lshrrev_b32_e32 v6, 16, v3
	s_waitcnt vmcnt(0)
	v_mul_f16_sdwa v11, v6, v2 dst_sel:DWORD dst_unused:UNUSED_PAD src0_sel:DWORD src1_sel:WORD_1
	v_mul_f16_sdwa v12, v3, v2 dst_sel:DWORD dst_unused:UNUSED_PAD src0_sel:DWORD src1_sel:WORD_1
	v_fmac_f16_e32 v11, v3, v2
	v_fma_f16 v2, v2, v6, -v12
	v_cvt_f32_f16_e32 v3, v11
	v_cvt_f32_f16_e32 v6, v2
	v_cvt_f64_f32_e32 v[2:3], v3
	v_cvt_f64_f32_e32 v[11:12], v6
	v_mul_f64 v[2:3], v[2:3], s[4:5]
	v_mul_f64 v[11:12], v[11:12], s[4:5]
	v_and_or_b32 v2, 0x1ff, v3, v2
	v_and_or_b32 v11, 0x1ff, v12, v11
	v_lshrrev_b32_e32 v6, 8, v3
	v_bfe_u32 v13, v3, 20, 11
	v_lshrrev_b32_e32 v14, 8, v12
	v_cmp_ne_u32_e32 vcc_lo, 0, v2
	v_bfe_u32 v15, v12, 20, 11
	v_lshrrev_b32_e32 v3, 16, v3
	v_sub_nc_u32_e32 v16, 0x3f1, v13
	v_add_nc_u32_e32 v13, 0xfffffc10, v13
	v_cndmask_b32_e64 v2, 0, 1, vcc_lo
	v_cmp_ne_u32_e32 vcc_lo, 0, v11
	v_lshrrev_b32_e32 v12, 16, v12
	v_and_or_b32 v2, 0xffe, v6, v2
	v_cndmask_b32_e64 v11, 0, 1, vcc_lo
	v_sub_nc_u32_e32 v6, 0x3f1, v15
	v_add_nc_u32_e32 v15, 0xfffffc10, v15
	v_and_or_b32 v11, 0xffe, v14, v11
	v_med3_i32 v14, v16, 0, 13
	v_or_b32_e32 v16, 0x1000, v2
	v_med3_i32 v6, v6, 0, 13
	v_or_b32_e32 v17, 0x1000, v11
	v_lshrrev_b32_e32 v18, v14, v16
	v_lshrrev_b32_e32 v19, v6, v17
	v_lshlrev_b32_e32 v14, v14, v18
	v_lshlrev_b32_e32 v6, v6, v19
	v_cmp_ne_u32_e32 vcc_lo, v14, v16
	v_lshl_or_b32 v16, v13, 12, v2
	v_cndmask_b32_e64 v14, 0, 1, vcc_lo
	v_cmp_ne_u32_e32 vcc_lo, v6, v17
	v_lshl_or_b32 v17, v15, 12, v11
	v_or_b32_e32 v14, v18, v14
	v_cndmask_b32_e64 v6, 0, 1, vcc_lo
	v_cmp_gt_i32_e32 vcc_lo, 1, v13
	v_or_b32_e32 v6, v19, v6
	v_cndmask_b32_e32 v14, v16, v14, vcc_lo
	v_cmp_gt_i32_e32 vcc_lo, 1, v15
	v_and_b32_e32 v16, 7, v14
	v_cndmask_b32_e32 v6, v17, v6, vcc_lo
	v_cmp_ne_u32_e32 vcc_lo, 0, v2
	v_lshrrev_b32_e32 v14, 2, v14
	v_cmp_eq_u32_e64 s0, 3, v16
	v_and_b32_e32 v17, 7, v6
	v_cndmask_b32_e64 v2, 0, 1, vcc_lo
	v_cmp_ne_u32_e32 vcc_lo, 0, v11
	v_lshrrev_b32_e32 v6, 2, v6
	v_cmp_lt_i32_e64 s1, 5, v17
	v_cmp_eq_u32_e64 s2, 3, v17
	v_cndmask_b32_e64 v11, 0, 1, vcc_lo
	v_cmp_lt_i32_e32 vcc_lo, 5, v16
	v_lshl_or_b32 v2, v2, 9, 0x7c00
	v_lshl_or_b32 v11, v11, 9, 0x7c00
	s_or_b32 vcc_lo, s0, vcc_lo
	s_mul_i32 s0, s9, 0xfffff8bc
	v_add_co_ci_u32_e32 v14, vcc_lo, 0, v14, vcc_lo
	s_or_b32 vcc_lo, s2, s1
	s_sub_i32 s0, s0, s8
	v_add_co_ci_u32_e32 v6, vcc_lo, 0, v6, vcc_lo
	v_cmp_gt_i32_e32 vcc_lo, 31, v13
	v_add_nc_u32_e32 v1, s0, v1
	v_cndmask_b32_e32 v14, 0x7c00, v14, vcc_lo
	v_cmp_gt_i32_e32 vcc_lo, 31, v15
	v_cndmask_b32_e32 v6, 0x7c00, v6, vcc_lo
	v_cmp_eq_u32_e32 vcc_lo, 0x40f, v13
	v_cndmask_b32_e32 v2, v14, v2, vcc_lo
	v_cmp_eq_u32_e32 vcc_lo, 0x40f, v15
	v_and_or_b32 v2, 0x8000, v3, v2
	v_cndmask_b32_e32 v6, v6, v11, vcc_lo
	v_and_b32_e32 v2, 0xffff, v2
	v_and_or_b32 v3, 0x8000, v12, v6
	v_lshl_or_b32 v2, v3, 16, v2
	global_store_dword v[0:1], v2, off
	global_load_dword v6, v[4:5], off offset:324
	ds_read2_b32 v[2:3], v45 offset0:81 offset1:123
	s_waitcnt lgkmcnt(0)
	v_lshrrev_b32_e32 v11, 16, v2
	s_waitcnt vmcnt(0)
	v_mul_f16_sdwa v12, v11, v6 dst_sel:DWORD dst_unused:UNUSED_PAD src0_sel:DWORD src1_sel:WORD_1
	v_mul_f16_sdwa v13, v2, v6 dst_sel:DWORD dst_unused:UNUSED_PAD src0_sel:DWORD src1_sel:WORD_1
	v_fmac_f16_e32 v12, v2, v6
	v_fma_f16 v2, v6, v11, -v13
	v_cvt_f32_f16_e32 v6, v12
	v_cvt_f32_f16_e32 v2, v2
	v_cvt_f64_f32_e32 v[11:12], v6
	v_cvt_f64_f32_e32 v[13:14], v2
	v_mul_f64 v[11:12], v[11:12], s[4:5]
	v_mul_f64 v[13:14], v[13:14], s[4:5]
	v_and_or_b32 v2, 0x1ff, v12, v11
	v_and_or_b32 v13, 0x1ff, v14, v13
	v_lshrrev_b32_e32 v6, 8, v12
	v_bfe_u32 v11, v12, 20, 11
	v_lshrrev_b32_e32 v15, 8, v14
	v_cmp_ne_u32_e32 vcc_lo, 0, v2
	v_bfe_u32 v16, v14, 20, 11
	v_lshrrev_b32_e32 v12, 16, v12
	v_sub_nc_u32_e32 v17, 0x3f1, v11
	v_add_nc_u32_e32 v11, 0xfffffc10, v11
	v_cndmask_b32_e64 v2, 0, 1, vcc_lo
	v_cmp_ne_u32_e32 vcc_lo, 0, v13
	v_and_or_b32 v2, 0xffe, v6, v2
	v_cndmask_b32_e64 v13, 0, 1, vcc_lo
	v_sub_nc_u32_e32 v6, 0x3f1, v16
	v_add_nc_u32_e32 v16, 0xfffffc10, v16
	v_and_or_b32 v13, 0xffe, v15, v13
	v_med3_i32 v15, v17, 0, 13
	v_or_b32_e32 v17, 0x1000, v2
	v_med3_i32 v6, v6, 0, 13
	v_or_b32_e32 v18, 0x1000, v13
	v_lshrrev_b32_e32 v19, v15, v17
	v_lshrrev_b32_e32 v20, v6, v18
	v_lshlrev_b32_e32 v15, v15, v19
	v_lshlrev_b32_e32 v6, v6, v20
	v_cmp_ne_u32_e32 vcc_lo, v15, v17
	v_lshl_or_b32 v17, v11, 12, v2
	v_cndmask_b32_e64 v15, 0, 1, vcc_lo
	v_cmp_ne_u32_e32 vcc_lo, v6, v18
	v_lshl_or_b32 v18, v16, 12, v13
	v_or_b32_e32 v15, v19, v15
	v_cndmask_b32_e64 v6, 0, 1, vcc_lo
	v_cmp_gt_i32_e32 vcc_lo, 1, v11
	v_or_b32_e32 v6, v20, v6
	v_cndmask_b32_e32 v15, v17, v15, vcc_lo
	v_cmp_gt_i32_e32 vcc_lo, 1, v16
	v_and_b32_e32 v17, 7, v15
	v_cndmask_b32_e32 v6, v18, v6, vcc_lo
	v_cmp_ne_u32_e32 vcc_lo, 0, v2
	v_lshrrev_b32_e32 v15, 2, v15
	v_cmp_eq_u32_e64 s0, 3, v17
	v_and_b32_e32 v18, 7, v6
	v_cndmask_b32_e64 v2, 0, 1, vcc_lo
	v_cmp_ne_u32_e32 vcc_lo, 0, v13
	v_lshrrev_b32_e32 v6, 2, v6
	v_cmp_lt_i32_e64 s1, 5, v18
	v_cmp_eq_u32_e64 s2, 3, v18
	v_cndmask_b32_e64 v13, 0, 1, vcc_lo
	v_cmp_lt_i32_e32 vcc_lo, 5, v17
	v_lshl_or_b32 v2, v2, 9, 0x7c00
	v_lshl_or_b32 v13, v13, 9, 0x7c00
	s_or_b32 vcc_lo, s0, vcc_lo
	v_add_co_ci_u32_e32 v15, vcc_lo, 0, v15, vcc_lo
	s_or_b32 vcc_lo, s2, s1
	v_add_co_ci_u32_e32 v6, vcc_lo, 0, v6, vcc_lo
	v_cmp_gt_i32_e32 vcc_lo, 31, v11
	v_cndmask_b32_e32 v15, 0x7c00, v15, vcc_lo
	v_cmp_gt_i32_e32 vcc_lo, 31, v16
	v_cndmask_b32_e32 v6, 0x7c00, v6, vcc_lo
	v_cmp_eq_u32_e32 vcc_lo, 0x40f, v11
	v_lshrrev_b32_e32 v11, 16, v14
	v_cndmask_b32_e32 v2, v15, v2, vcc_lo
	v_cmp_eq_u32_e32 vcc_lo, 0x40f, v16
	v_and_or_b32 v2, 0x8000, v12, v2
	v_cndmask_b32_e32 v6, v6, v13, vcc_lo
	v_add_co_u32 v0, vcc_lo, v0, s6
	v_add_co_ci_u32_e32 v1, vcc_lo, s7, v1, vcc_lo
	v_and_or_b32 v6, 0x8000, v11, v6
	v_and_b32_e32 v2, 0xffff, v2
	v_lshl_or_b32 v2, v6, 16, v2
	v_lshrrev_b32_e32 v6, 16, v3
	global_store_dword v[0:1], v2, off
	global_load_dword v2, v[4:5], off offset:492
	s_waitcnt vmcnt(0)
	v_mul_f16_sdwa v11, v6, v2 dst_sel:DWORD dst_unused:UNUSED_PAD src0_sel:DWORD src1_sel:WORD_1
	v_mul_f16_sdwa v12, v3, v2 dst_sel:DWORD dst_unused:UNUSED_PAD src0_sel:DWORD src1_sel:WORD_1
	v_fmac_f16_e32 v11, v3, v2
	v_fma_f16 v2, v2, v6, -v12
	v_cvt_f32_f16_e32 v3, v11
	v_cvt_f32_f16_e32 v6, v2
	v_cvt_f64_f32_e32 v[2:3], v3
	v_cvt_f64_f32_e32 v[11:12], v6
	v_mul_f64 v[2:3], v[2:3], s[4:5]
	v_mul_f64 v[11:12], v[11:12], s[4:5]
	v_and_or_b32 v2, 0x1ff, v3, v2
	v_and_or_b32 v11, 0x1ff, v12, v11
	v_lshrrev_b32_e32 v6, 8, v3
	v_bfe_u32 v13, v3, 20, 11
	v_lshrrev_b32_e32 v14, 8, v12
	v_cmp_ne_u32_e32 vcc_lo, 0, v2
	v_bfe_u32 v15, v12, 20, 11
	v_lshrrev_b32_e32 v3, 16, v3
	v_sub_nc_u32_e32 v16, 0x3f1, v13
	v_add_nc_u32_e32 v13, 0xfffffc10, v13
	v_cndmask_b32_e64 v2, 0, 1, vcc_lo
	v_cmp_ne_u32_e32 vcc_lo, 0, v11
	v_lshrrev_b32_e32 v12, 16, v12
	v_and_or_b32 v2, 0xffe, v6, v2
	v_cndmask_b32_e64 v11, 0, 1, vcc_lo
	v_sub_nc_u32_e32 v6, 0x3f1, v15
	v_add_nc_u32_e32 v15, 0xfffffc10, v15
	v_and_or_b32 v11, 0xffe, v14, v11
	v_med3_i32 v14, v16, 0, 13
	v_or_b32_e32 v16, 0x1000, v2
	v_med3_i32 v6, v6, 0, 13
	v_or_b32_e32 v17, 0x1000, v11
	v_lshrrev_b32_e32 v18, v14, v16
	v_lshrrev_b32_e32 v19, v6, v17
	v_lshlrev_b32_e32 v14, v14, v18
	v_lshlrev_b32_e32 v6, v6, v19
	v_cmp_ne_u32_e32 vcc_lo, v14, v16
	v_lshl_or_b32 v16, v13, 12, v2
	v_cndmask_b32_e64 v14, 0, 1, vcc_lo
	v_cmp_ne_u32_e32 vcc_lo, v6, v17
	v_lshl_or_b32 v17, v15, 12, v11
	v_or_b32_e32 v14, v18, v14
	v_cndmask_b32_e64 v6, 0, 1, vcc_lo
	v_cmp_gt_i32_e32 vcc_lo, 1, v13
	v_or_b32_e32 v6, v19, v6
	v_cndmask_b32_e32 v14, v16, v14, vcc_lo
	v_cmp_gt_i32_e32 vcc_lo, 1, v15
	v_and_b32_e32 v16, 7, v14
	v_cndmask_b32_e32 v6, v17, v6, vcc_lo
	v_cmp_ne_u32_e32 vcc_lo, 0, v2
	v_lshrrev_b32_e32 v14, 2, v14
	v_cmp_eq_u32_e64 s0, 3, v16
	v_and_b32_e32 v17, 7, v6
	v_cndmask_b32_e64 v2, 0, 1, vcc_lo
	v_cmp_ne_u32_e32 vcc_lo, 0, v11
	v_lshrrev_b32_e32 v6, 2, v6
	v_cmp_lt_i32_e64 s1, 5, v17
	v_cmp_eq_u32_e64 s2, 3, v17
	v_cndmask_b32_e64 v11, 0, 1, vcc_lo
	v_cmp_lt_i32_e32 vcc_lo, 5, v16
	v_lshl_or_b32 v2, v2, 9, 0x7c00
	v_lshl_or_b32 v11, v11, 9, 0x7c00
	s_or_b32 vcc_lo, s0, vcc_lo
	v_add_co_ci_u32_e32 v14, vcc_lo, 0, v14, vcc_lo
	s_or_b32 vcc_lo, s2, s1
	v_add_co_ci_u32_e32 v6, vcc_lo, 0, v6, vcc_lo
	v_cmp_gt_i32_e32 vcc_lo, 31, v13
	v_cndmask_b32_e32 v14, 0x7c00, v14, vcc_lo
	v_cmp_gt_i32_e32 vcc_lo, 31, v15
	v_cndmask_b32_e32 v6, 0x7c00, v6, vcc_lo
	v_cmp_eq_u32_e32 vcc_lo, 0x40f, v13
	v_cndmask_b32_e32 v2, v14, v2, vcc_lo
	v_cmp_eq_u32_e32 vcc_lo, 0x40f, v15
	v_and_or_b32 v2, 0x8000, v3, v2
	v_cndmask_b32_e32 v6, v6, v11, vcc_lo
	v_add_co_u32 v0, vcc_lo, v0, s6
	v_add_co_ci_u32_e32 v1, vcc_lo, s7, v1, vcc_lo
	v_and_or_b32 v3, 0x8000, v12, v6
	v_and_b32_e32 v2, 0xffff, v2
	v_lshl_or_b32 v2, v3, 16, v2
	global_store_dword v[0:1], v2, off
	global_load_dword v6, v[4:5], off offset:660
	ds_read2_b32 v[2:3], v45 offset0:165 offset1:207
	s_waitcnt lgkmcnt(0)
	v_lshrrev_b32_e32 v11, 16, v2
	s_waitcnt vmcnt(0)
	v_mul_f16_sdwa v12, v11, v6 dst_sel:DWORD dst_unused:UNUSED_PAD src0_sel:DWORD src1_sel:WORD_1
	v_mul_f16_sdwa v13, v2, v6 dst_sel:DWORD dst_unused:UNUSED_PAD src0_sel:DWORD src1_sel:WORD_1
	v_fmac_f16_e32 v12, v2, v6
	v_fma_f16 v2, v6, v11, -v13
	v_cvt_f32_f16_e32 v6, v12
	v_cvt_f32_f16_e32 v2, v2
	v_cvt_f64_f32_e32 v[11:12], v6
	v_cvt_f64_f32_e32 v[13:14], v2
	v_mul_f64 v[11:12], v[11:12], s[4:5]
	v_mul_f64 v[13:14], v[13:14], s[4:5]
	v_and_or_b32 v2, 0x1ff, v12, v11
	v_and_or_b32 v13, 0x1ff, v14, v13
	v_lshrrev_b32_e32 v6, 8, v12
	v_bfe_u32 v11, v12, 20, 11
	v_lshrrev_b32_e32 v15, 8, v14
	v_cmp_ne_u32_e32 vcc_lo, 0, v2
	v_bfe_u32 v16, v14, 20, 11
	v_lshrrev_b32_e32 v12, 16, v12
	v_sub_nc_u32_e32 v17, 0x3f1, v11
	v_add_nc_u32_e32 v11, 0xfffffc10, v11
	v_cndmask_b32_e64 v2, 0, 1, vcc_lo
	v_cmp_ne_u32_e32 vcc_lo, 0, v13
	v_and_or_b32 v2, 0xffe, v6, v2
	v_cndmask_b32_e64 v13, 0, 1, vcc_lo
	v_sub_nc_u32_e32 v6, 0x3f1, v16
	v_add_nc_u32_e32 v16, 0xfffffc10, v16
	v_and_or_b32 v13, 0xffe, v15, v13
	v_med3_i32 v15, v17, 0, 13
	v_or_b32_e32 v17, 0x1000, v2
	v_med3_i32 v6, v6, 0, 13
	v_or_b32_e32 v18, 0x1000, v13
	v_lshrrev_b32_e32 v19, v15, v17
	v_lshrrev_b32_e32 v20, v6, v18
	v_lshlrev_b32_e32 v15, v15, v19
	v_lshlrev_b32_e32 v6, v6, v20
	v_cmp_ne_u32_e32 vcc_lo, v15, v17
	v_lshl_or_b32 v17, v11, 12, v2
	v_cndmask_b32_e64 v15, 0, 1, vcc_lo
	v_cmp_ne_u32_e32 vcc_lo, v6, v18
	v_lshl_or_b32 v18, v16, 12, v13
	v_or_b32_e32 v15, v19, v15
	v_cndmask_b32_e64 v6, 0, 1, vcc_lo
	v_cmp_gt_i32_e32 vcc_lo, 1, v11
	v_or_b32_e32 v6, v20, v6
	v_cndmask_b32_e32 v15, v17, v15, vcc_lo
	v_cmp_gt_i32_e32 vcc_lo, 1, v16
	v_and_b32_e32 v17, 7, v15
	v_cndmask_b32_e32 v6, v18, v6, vcc_lo
	v_cmp_ne_u32_e32 vcc_lo, 0, v2
	v_lshrrev_b32_e32 v15, 2, v15
	v_cmp_eq_u32_e64 s0, 3, v17
	v_and_b32_e32 v18, 7, v6
	v_cndmask_b32_e64 v2, 0, 1, vcc_lo
	v_cmp_ne_u32_e32 vcc_lo, 0, v13
	v_lshrrev_b32_e32 v6, 2, v6
	v_cmp_lt_i32_e64 s1, 5, v18
	v_cmp_eq_u32_e64 s2, 3, v18
	v_cndmask_b32_e64 v13, 0, 1, vcc_lo
	v_cmp_lt_i32_e32 vcc_lo, 5, v17
	v_lshl_or_b32 v2, v2, 9, 0x7c00
	v_lshl_or_b32 v13, v13, 9, 0x7c00
	s_or_b32 vcc_lo, s0, vcc_lo
	v_add_co_ci_u32_e32 v15, vcc_lo, 0, v15, vcc_lo
	s_or_b32 vcc_lo, s2, s1
	v_add_co_ci_u32_e32 v6, vcc_lo, 0, v6, vcc_lo
	v_cmp_gt_i32_e32 vcc_lo, 31, v11
	v_cndmask_b32_e32 v15, 0x7c00, v15, vcc_lo
	v_cmp_gt_i32_e32 vcc_lo, 31, v16
	v_cndmask_b32_e32 v6, 0x7c00, v6, vcc_lo
	v_cmp_eq_u32_e32 vcc_lo, 0x40f, v11
	v_lshrrev_b32_e32 v11, 16, v14
	v_cndmask_b32_e32 v2, v15, v2, vcc_lo
	v_cmp_eq_u32_e32 vcc_lo, 0x40f, v16
	v_and_or_b32 v2, 0x8000, v12, v2
	v_cndmask_b32_e32 v6, v6, v13, vcc_lo
	v_add_co_u32 v0, vcc_lo, v0, s6
	v_add_co_ci_u32_e32 v1, vcc_lo, s7, v1, vcc_lo
	v_and_or_b32 v6, 0x8000, v11, v6
	v_and_b32_e32 v2, 0xffff, v2
	v_lshl_or_b32 v2, v6, 16, v2
	v_lshrrev_b32_e32 v6, 16, v3
	global_store_dword v[0:1], v2, off
	global_load_dword v2, v[4:5], off offset:828
	s_waitcnt vmcnt(0)
	v_mul_f16_sdwa v11, v6, v2 dst_sel:DWORD dst_unused:UNUSED_PAD src0_sel:DWORD src1_sel:WORD_1
	v_mul_f16_sdwa v12, v3, v2 dst_sel:DWORD dst_unused:UNUSED_PAD src0_sel:DWORD src1_sel:WORD_1
	v_fmac_f16_e32 v11, v3, v2
	v_fma_f16 v2, v2, v6, -v12
	v_cvt_f32_f16_e32 v3, v11
	v_cvt_f32_f16_e32 v6, v2
	v_cvt_f64_f32_e32 v[2:3], v3
	v_cvt_f64_f32_e32 v[11:12], v6
	v_mul_f64 v[2:3], v[2:3], s[4:5]
	v_mul_f64 v[11:12], v[11:12], s[4:5]
	v_and_or_b32 v2, 0x1ff, v3, v2
	v_and_or_b32 v11, 0x1ff, v12, v11
	v_lshrrev_b32_e32 v6, 8, v3
	v_bfe_u32 v13, v3, 20, 11
	v_lshrrev_b32_e32 v14, 8, v12
	v_cmp_ne_u32_e32 vcc_lo, 0, v2
	v_bfe_u32 v15, v12, 20, 11
	v_lshrrev_b32_e32 v3, 16, v3
	v_sub_nc_u32_e32 v16, 0x3f1, v13
	v_add_nc_u32_e32 v13, 0xfffffc10, v13
	v_cndmask_b32_e64 v2, 0, 1, vcc_lo
	v_cmp_ne_u32_e32 vcc_lo, 0, v11
	v_lshrrev_b32_e32 v12, 16, v12
	v_and_or_b32 v2, 0xffe, v6, v2
	v_cndmask_b32_e64 v11, 0, 1, vcc_lo
	v_sub_nc_u32_e32 v6, 0x3f1, v15
	v_add_nc_u32_e32 v15, 0xfffffc10, v15
	v_and_or_b32 v11, 0xffe, v14, v11
	v_med3_i32 v14, v16, 0, 13
	v_or_b32_e32 v16, 0x1000, v2
	v_med3_i32 v6, v6, 0, 13
	v_or_b32_e32 v17, 0x1000, v11
	v_lshrrev_b32_e32 v18, v14, v16
	v_lshrrev_b32_e32 v19, v6, v17
	v_lshlrev_b32_e32 v14, v14, v18
	v_lshlrev_b32_e32 v6, v6, v19
	v_cmp_ne_u32_e32 vcc_lo, v14, v16
	v_lshl_or_b32 v16, v13, 12, v2
	v_cndmask_b32_e64 v14, 0, 1, vcc_lo
	v_cmp_ne_u32_e32 vcc_lo, v6, v17
	v_lshl_or_b32 v17, v15, 12, v11
	v_or_b32_e32 v14, v18, v14
	v_cndmask_b32_e64 v6, 0, 1, vcc_lo
	v_cmp_gt_i32_e32 vcc_lo, 1, v13
	v_or_b32_e32 v6, v19, v6
	v_cndmask_b32_e32 v14, v16, v14, vcc_lo
	v_cmp_gt_i32_e32 vcc_lo, 1, v15
	v_and_b32_e32 v16, 7, v14
	v_cndmask_b32_e32 v6, v17, v6, vcc_lo
	v_cmp_ne_u32_e32 vcc_lo, 0, v2
	v_lshrrev_b32_e32 v14, 2, v14
	v_cmp_eq_u32_e64 s0, 3, v16
	v_and_b32_e32 v17, 7, v6
	v_cndmask_b32_e64 v2, 0, 1, vcc_lo
	v_cmp_ne_u32_e32 vcc_lo, 0, v11
	v_lshrrev_b32_e32 v6, 2, v6
	v_cmp_lt_i32_e64 s1, 5, v17
	v_cmp_eq_u32_e64 s2, 3, v17
	v_cndmask_b32_e64 v11, 0, 1, vcc_lo
	v_cmp_lt_i32_e32 vcc_lo, 5, v16
	v_lshl_or_b32 v2, v2, 9, 0x7c00
	v_lshl_or_b32 v11, v11, 9, 0x7c00
	s_or_b32 vcc_lo, s0, vcc_lo
	v_add_co_ci_u32_e32 v14, vcc_lo, 0, v14, vcc_lo
	s_or_b32 vcc_lo, s2, s1
	v_add_co_ci_u32_e32 v6, vcc_lo, 0, v6, vcc_lo
	v_cmp_gt_i32_e32 vcc_lo, 31, v13
	v_cndmask_b32_e32 v14, 0x7c00, v14, vcc_lo
	v_cmp_gt_i32_e32 vcc_lo, 31, v15
	v_cndmask_b32_e32 v6, 0x7c00, v6, vcc_lo
	v_cmp_eq_u32_e32 vcc_lo, 0x40f, v13
	v_cndmask_b32_e32 v2, v14, v2, vcc_lo
	v_cmp_eq_u32_e32 vcc_lo, 0x40f, v15
	v_and_or_b32 v2, 0x8000, v3, v2
	v_cndmask_b32_e32 v6, v6, v11, vcc_lo
	v_add_co_u32 v0, vcc_lo, v0, s6
	v_add_co_ci_u32_e32 v1, vcc_lo, s7, v1, vcc_lo
	v_and_or_b32 v3, 0x8000, v12, v6
	v_and_b32_e32 v2, 0xffff, v2
	v_lshl_or_b32 v2, v3, 16, v2
	global_store_dword v[0:1], v2, off
	global_load_dword v6, v[4:5], off offset:996
	ds_read2_b32 v[2:3], v10 offset0:121 offset1:163
	s_waitcnt lgkmcnt(0)
	v_lshrrev_b32_e32 v10, 16, v2
	s_waitcnt vmcnt(0)
	v_mul_f16_sdwa v11, v10, v6 dst_sel:DWORD dst_unused:UNUSED_PAD src0_sel:DWORD src1_sel:WORD_1
	v_mul_f16_sdwa v12, v2, v6 dst_sel:DWORD dst_unused:UNUSED_PAD src0_sel:DWORD src1_sel:WORD_1
	v_fmac_f16_e32 v11, v2, v6
	v_fma_f16 v2, v6, v10, -v12
	v_cvt_f32_f16_e32 v6, v11
	v_cvt_f32_f16_e32 v2, v2
	v_cvt_f64_f32_e32 v[10:11], v6
	v_cvt_f64_f32_e32 v[12:13], v2
	v_mul_f64 v[10:11], v[10:11], s[4:5]
	v_mul_f64 v[12:13], v[12:13], s[4:5]
	v_and_or_b32 v2, 0x1ff, v11, v10
	v_and_or_b32 v12, 0x1ff, v13, v12
	v_lshrrev_b32_e32 v6, 8, v11
	v_bfe_u32 v10, v11, 20, 11
	v_lshrrev_b32_e32 v14, 8, v13
	v_cmp_ne_u32_e32 vcc_lo, 0, v2
	v_bfe_u32 v15, v13, 20, 11
	v_lshrrev_b32_e32 v11, 16, v11
	v_sub_nc_u32_e32 v16, 0x3f1, v10
	v_add_nc_u32_e32 v10, 0xfffffc10, v10
	v_cndmask_b32_e64 v2, 0, 1, vcc_lo
	v_cmp_ne_u32_e32 vcc_lo, 0, v12
	v_and_or_b32 v2, 0xffe, v6, v2
	v_cndmask_b32_e64 v12, 0, 1, vcc_lo
	v_sub_nc_u32_e32 v6, 0x3f1, v15
	v_add_nc_u32_e32 v15, 0xfffffc10, v15
	v_and_or_b32 v12, 0xffe, v14, v12
	v_med3_i32 v14, v16, 0, 13
	v_or_b32_e32 v16, 0x1000, v2
	v_med3_i32 v6, v6, 0, 13
	v_or_b32_e32 v17, 0x1000, v12
	v_lshrrev_b32_e32 v18, v14, v16
	v_lshrrev_b32_e32 v19, v6, v17
	v_lshlrev_b32_e32 v14, v14, v18
	v_lshlrev_b32_e32 v6, v6, v19
	v_cmp_ne_u32_e32 vcc_lo, v14, v16
	v_lshl_or_b32 v16, v10, 12, v2
	v_cndmask_b32_e64 v14, 0, 1, vcc_lo
	v_cmp_ne_u32_e32 vcc_lo, v6, v17
	v_lshl_or_b32 v17, v15, 12, v12
	v_or_b32_e32 v14, v18, v14
	v_cndmask_b32_e64 v6, 0, 1, vcc_lo
	v_cmp_gt_i32_e32 vcc_lo, 1, v10
	v_or_b32_e32 v6, v19, v6
	v_cndmask_b32_e32 v14, v16, v14, vcc_lo
	v_cmp_gt_i32_e32 vcc_lo, 1, v15
	v_and_b32_e32 v16, 7, v14
	v_cndmask_b32_e32 v6, v17, v6, vcc_lo
	v_cmp_ne_u32_e32 vcc_lo, 0, v2
	v_lshrrev_b32_e32 v14, 2, v14
	v_cmp_eq_u32_e64 s0, 3, v16
	v_and_b32_e32 v17, 7, v6
	v_cndmask_b32_e64 v2, 0, 1, vcc_lo
	v_cmp_ne_u32_e32 vcc_lo, 0, v12
	v_lshrrev_b32_e32 v6, 2, v6
	v_cmp_lt_i32_e64 s1, 5, v17
	v_cmp_eq_u32_e64 s2, 3, v17
	v_cndmask_b32_e64 v12, 0, 1, vcc_lo
	v_cmp_lt_i32_e32 vcc_lo, 5, v16
	v_lshl_or_b32 v2, v2, 9, 0x7c00
	v_lshl_or_b32 v12, v12, 9, 0x7c00
	s_or_b32 vcc_lo, s0, vcc_lo
	v_add_co_ci_u32_e32 v14, vcc_lo, 0, v14, vcc_lo
	s_or_b32 vcc_lo, s2, s1
	v_add_co_ci_u32_e32 v6, vcc_lo, 0, v6, vcc_lo
	v_cmp_gt_i32_e32 vcc_lo, 31, v10
	v_cndmask_b32_e32 v14, 0x7c00, v14, vcc_lo
	v_cmp_gt_i32_e32 vcc_lo, 31, v15
	v_cndmask_b32_e32 v6, 0x7c00, v6, vcc_lo
	v_cmp_eq_u32_e32 vcc_lo, 0x40f, v10
	v_lshrrev_b32_e32 v10, 16, v13
	v_cndmask_b32_e32 v2, v14, v2, vcc_lo
	v_cmp_eq_u32_e32 vcc_lo, 0x40f, v15
	v_and_or_b32 v2, 0x8000, v11, v2
	v_cndmask_b32_e32 v6, v6, v12, vcc_lo
	v_add_co_u32 v0, vcc_lo, v0, s6
	v_add_co_ci_u32_e32 v1, vcc_lo, s7, v1, vcc_lo
	v_and_or_b32 v6, 0x8000, v10, v6
	v_and_b32_e32 v2, 0xffff, v2
	v_lshl_or_b32 v2, v6, 16, v2
	v_lshrrev_b32_e32 v6, 16, v3
	global_store_dword v[0:1], v2, off
	global_load_dword v2, v[4:5], off offset:1164
	s_waitcnt vmcnt(0)
	v_mul_f16_sdwa v10, v6, v2 dst_sel:DWORD dst_unused:UNUSED_PAD src0_sel:DWORD src1_sel:WORD_1
	v_mul_f16_sdwa v11, v3, v2 dst_sel:DWORD dst_unused:UNUSED_PAD src0_sel:DWORD src1_sel:WORD_1
	v_fmac_f16_e32 v10, v3, v2
	v_fma_f16 v2, v2, v6, -v11
	v_cvt_f32_f16_e32 v3, v10
	v_cvt_f32_f16_e32 v6, v2
	v_cvt_f64_f32_e32 v[2:3], v3
	v_cvt_f64_f32_e32 v[10:11], v6
	v_mul_f64 v[2:3], v[2:3], s[4:5]
	v_mul_f64 v[10:11], v[10:11], s[4:5]
	v_and_or_b32 v2, 0x1ff, v3, v2
	v_and_or_b32 v10, 0x1ff, v11, v10
	v_lshrrev_b32_e32 v6, 8, v3
	v_bfe_u32 v12, v3, 20, 11
	v_lshrrev_b32_e32 v13, 8, v11
	v_cmp_ne_u32_e32 vcc_lo, 0, v2
	v_bfe_u32 v14, v11, 20, 11
	v_lshrrev_b32_e32 v3, 16, v3
	v_sub_nc_u32_e32 v15, 0x3f1, v12
	v_add_nc_u32_e32 v12, 0xfffffc10, v12
	v_cndmask_b32_e64 v2, 0, 1, vcc_lo
	v_cmp_ne_u32_e32 vcc_lo, 0, v10
	v_lshrrev_b32_e32 v11, 16, v11
	v_and_or_b32 v2, 0xffe, v6, v2
	v_cndmask_b32_e64 v10, 0, 1, vcc_lo
	v_sub_nc_u32_e32 v6, 0x3f1, v14
	v_add_nc_u32_e32 v14, 0xfffffc10, v14
	v_and_or_b32 v10, 0xffe, v13, v10
	v_med3_i32 v13, v15, 0, 13
	v_or_b32_e32 v15, 0x1000, v2
	v_med3_i32 v6, v6, 0, 13
	v_or_b32_e32 v16, 0x1000, v10
	v_lshrrev_b32_e32 v17, v13, v15
	v_lshrrev_b32_e32 v18, v6, v16
	v_lshlrev_b32_e32 v13, v13, v17
	v_lshlrev_b32_e32 v6, v6, v18
	v_cmp_ne_u32_e32 vcc_lo, v13, v15
	v_lshl_or_b32 v15, v12, 12, v2
	v_cndmask_b32_e64 v13, 0, 1, vcc_lo
	v_cmp_ne_u32_e32 vcc_lo, v6, v16
	v_lshl_or_b32 v16, v14, 12, v10
	v_or_b32_e32 v13, v17, v13
	v_cndmask_b32_e64 v6, 0, 1, vcc_lo
	v_cmp_gt_i32_e32 vcc_lo, 1, v12
	v_or_b32_e32 v6, v18, v6
	v_cndmask_b32_e32 v13, v15, v13, vcc_lo
	v_cmp_gt_i32_e32 vcc_lo, 1, v14
	v_and_b32_e32 v15, 7, v13
	v_cndmask_b32_e32 v6, v16, v6, vcc_lo
	v_cmp_ne_u32_e32 vcc_lo, 0, v2
	v_lshrrev_b32_e32 v13, 2, v13
	v_cmp_eq_u32_e64 s0, 3, v15
	v_and_b32_e32 v16, 7, v6
	v_cndmask_b32_e64 v2, 0, 1, vcc_lo
	v_cmp_ne_u32_e32 vcc_lo, 0, v10
	v_lshrrev_b32_e32 v6, 2, v6
	v_cmp_lt_i32_e64 s1, 5, v16
	v_cmp_eq_u32_e64 s2, 3, v16
	v_cndmask_b32_e64 v10, 0, 1, vcc_lo
	v_cmp_lt_i32_e32 vcc_lo, 5, v15
	v_lshl_or_b32 v2, v2, 9, 0x7c00
	v_lshl_or_b32 v10, v10, 9, 0x7c00
	s_or_b32 vcc_lo, s0, vcc_lo
	v_add_co_ci_u32_e32 v13, vcc_lo, 0, v13, vcc_lo
	s_or_b32 vcc_lo, s2, s1
	v_add_co_ci_u32_e32 v6, vcc_lo, 0, v6, vcc_lo
	v_cmp_gt_i32_e32 vcc_lo, 31, v12
	v_cndmask_b32_e32 v13, 0x7c00, v13, vcc_lo
	v_cmp_gt_i32_e32 vcc_lo, 31, v14
	v_cndmask_b32_e32 v6, 0x7c00, v6, vcc_lo
	v_cmp_eq_u32_e32 vcc_lo, 0x40f, v12
	v_cndmask_b32_e32 v2, v13, v2, vcc_lo
	v_cmp_eq_u32_e32 vcc_lo, 0x40f, v14
	v_and_or_b32 v2, 0x8000, v3, v2
	v_cndmask_b32_e32 v6, v6, v10, vcc_lo
	v_add_co_u32 v0, vcc_lo, v0, s6
	v_add_co_ci_u32_e32 v1, vcc_lo, s7, v1, vcc_lo
	v_and_or_b32 v3, 0x8000, v11, v6
	v_and_b32_e32 v2, 0xffff, v2
	v_lshl_or_b32 v2, v3, 16, v2
	global_store_dword v[0:1], v2, off
	global_load_dword v6, v[4:5], off offset:1332
	ds_read2_b32 v[2:3], v9 offset0:77 offset1:119
	s_waitcnt lgkmcnt(0)
	v_lshrrev_b32_e32 v10, 16, v2
	s_waitcnt vmcnt(0)
	v_mul_f16_sdwa v11, v10, v6 dst_sel:DWORD dst_unused:UNUSED_PAD src0_sel:DWORD src1_sel:WORD_1
	v_mul_f16_sdwa v12, v2, v6 dst_sel:DWORD dst_unused:UNUSED_PAD src0_sel:DWORD src1_sel:WORD_1
	v_fmac_f16_e32 v11, v2, v6
	v_fma_f16 v2, v6, v10, -v12
	v_cvt_f32_f16_e32 v6, v11
	v_cvt_f32_f16_e32 v2, v2
	v_cvt_f64_f32_e32 v[10:11], v6
	v_cvt_f64_f32_e32 v[12:13], v2
	v_mul_f64 v[10:11], v[10:11], s[4:5]
	v_mul_f64 v[12:13], v[12:13], s[4:5]
	v_and_or_b32 v2, 0x1ff, v11, v10
	v_and_or_b32 v12, 0x1ff, v13, v12
	v_lshrrev_b32_e32 v6, 8, v11
	v_bfe_u32 v10, v11, 20, 11
	v_lshrrev_b32_e32 v14, 8, v13
	v_cmp_ne_u32_e32 vcc_lo, 0, v2
	v_bfe_u32 v15, v13, 20, 11
	v_lshrrev_b32_e32 v11, 16, v11
	v_sub_nc_u32_e32 v16, 0x3f1, v10
	v_add_nc_u32_e32 v10, 0xfffffc10, v10
	v_cndmask_b32_e64 v2, 0, 1, vcc_lo
	v_cmp_ne_u32_e32 vcc_lo, 0, v12
	v_and_or_b32 v2, 0xffe, v6, v2
	v_cndmask_b32_e64 v12, 0, 1, vcc_lo
	v_sub_nc_u32_e32 v6, 0x3f1, v15
	v_add_nc_u32_e32 v15, 0xfffffc10, v15
	v_and_or_b32 v12, 0xffe, v14, v12
	v_med3_i32 v14, v16, 0, 13
	v_or_b32_e32 v16, 0x1000, v2
	v_med3_i32 v6, v6, 0, 13
	v_or_b32_e32 v17, 0x1000, v12
	v_lshrrev_b32_e32 v18, v14, v16
	v_lshrrev_b32_e32 v19, v6, v17
	v_lshlrev_b32_e32 v14, v14, v18
	v_lshlrev_b32_e32 v6, v6, v19
	v_cmp_ne_u32_e32 vcc_lo, v14, v16
	v_lshl_or_b32 v16, v10, 12, v2
	v_cndmask_b32_e64 v14, 0, 1, vcc_lo
	v_cmp_ne_u32_e32 vcc_lo, v6, v17
	v_lshl_or_b32 v17, v15, 12, v12
	v_or_b32_e32 v14, v18, v14
	v_cndmask_b32_e64 v6, 0, 1, vcc_lo
	v_cmp_gt_i32_e32 vcc_lo, 1, v10
	v_or_b32_e32 v6, v19, v6
	v_cndmask_b32_e32 v14, v16, v14, vcc_lo
	v_cmp_gt_i32_e32 vcc_lo, 1, v15
	v_and_b32_e32 v16, 7, v14
	v_cndmask_b32_e32 v6, v17, v6, vcc_lo
	v_cmp_ne_u32_e32 vcc_lo, 0, v2
	v_lshrrev_b32_e32 v14, 2, v14
	v_cmp_eq_u32_e64 s0, 3, v16
	v_and_b32_e32 v17, 7, v6
	v_cndmask_b32_e64 v2, 0, 1, vcc_lo
	v_cmp_ne_u32_e32 vcc_lo, 0, v12
	v_lshrrev_b32_e32 v6, 2, v6
	v_cmp_lt_i32_e64 s1, 5, v17
	v_cmp_eq_u32_e64 s2, 3, v17
	v_cndmask_b32_e64 v12, 0, 1, vcc_lo
	v_cmp_lt_i32_e32 vcc_lo, 5, v16
	v_lshl_or_b32 v2, v2, 9, 0x7c00
	v_lshl_or_b32 v12, v12, 9, 0x7c00
	s_or_b32 vcc_lo, s0, vcc_lo
	v_add_co_ci_u32_e32 v14, vcc_lo, 0, v14, vcc_lo
	s_or_b32 vcc_lo, s2, s1
	v_add_co_ci_u32_e32 v6, vcc_lo, 0, v6, vcc_lo
	v_cmp_gt_i32_e32 vcc_lo, 31, v10
	v_cndmask_b32_e32 v14, 0x7c00, v14, vcc_lo
	v_cmp_gt_i32_e32 vcc_lo, 31, v15
	v_cndmask_b32_e32 v6, 0x7c00, v6, vcc_lo
	v_cmp_eq_u32_e32 vcc_lo, 0x40f, v10
	v_lshrrev_b32_e32 v10, 16, v13
	v_cndmask_b32_e32 v2, v14, v2, vcc_lo
	v_cmp_eq_u32_e32 vcc_lo, 0x40f, v15
	v_and_or_b32 v2, 0x8000, v11, v2
	v_cndmask_b32_e32 v6, v6, v12, vcc_lo
	v_add_co_u32 v0, vcc_lo, v0, s6
	v_add_co_ci_u32_e32 v1, vcc_lo, s7, v1, vcc_lo
	v_and_or_b32 v6, 0x8000, v10, v6
	v_and_b32_e32 v2, 0xffff, v2
	v_lshl_or_b32 v2, v6, 16, v2
	v_lshrrev_b32_e32 v6, 16, v3
	global_store_dword v[0:1], v2, off
	global_load_dword v2, v[4:5], off offset:1500
	s_waitcnt vmcnt(0)
	v_mul_f16_sdwa v10, v6, v2 dst_sel:DWORD dst_unused:UNUSED_PAD src0_sel:DWORD src1_sel:WORD_1
	v_mul_f16_sdwa v11, v3, v2 dst_sel:DWORD dst_unused:UNUSED_PAD src0_sel:DWORD src1_sel:WORD_1
	v_fmac_f16_e32 v10, v3, v2
	v_fma_f16 v2, v2, v6, -v11
	v_cvt_f32_f16_e32 v3, v10
	v_cvt_f32_f16_e32 v6, v2
	v_cvt_f64_f32_e32 v[2:3], v3
	v_cvt_f64_f32_e32 v[10:11], v6
	v_mul_f64 v[2:3], v[2:3], s[4:5]
	v_mul_f64 v[10:11], v[10:11], s[4:5]
	v_and_or_b32 v2, 0x1ff, v3, v2
	v_and_or_b32 v10, 0x1ff, v11, v10
	v_lshrrev_b32_e32 v6, 8, v3
	v_bfe_u32 v12, v3, 20, 11
	v_lshrrev_b32_e32 v13, 8, v11
	v_cmp_ne_u32_e32 vcc_lo, 0, v2
	v_bfe_u32 v14, v11, 20, 11
	v_lshrrev_b32_e32 v3, 16, v3
	v_sub_nc_u32_e32 v15, 0x3f1, v12
	v_add_nc_u32_e32 v12, 0xfffffc10, v12
	v_cndmask_b32_e64 v2, 0, 1, vcc_lo
	v_cmp_ne_u32_e32 vcc_lo, 0, v10
	v_lshrrev_b32_e32 v11, 16, v11
	v_and_or_b32 v2, 0xffe, v6, v2
	v_cndmask_b32_e64 v10, 0, 1, vcc_lo
	v_sub_nc_u32_e32 v6, 0x3f1, v14
	v_add_nc_u32_e32 v14, 0xfffffc10, v14
	v_and_or_b32 v10, 0xffe, v13, v10
	v_med3_i32 v13, v15, 0, 13
	v_or_b32_e32 v15, 0x1000, v2
	v_med3_i32 v6, v6, 0, 13
	v_or_b32_e32 v16, 0x1000, v10
	v_lshrrev_b32_e32 v17, v13, v15
	v_lshrrev_b32_e32 v18, v6, v16
	v_lshlrev_b32_e32 v13, v13, v17
	v_lshlrev_b32_e32 v6, v6, v18
	v_cmp_ne_u32_e32 vcc_lo, v13, v15
	v_lshl_or_b32 v15, v12, 12, v2
	v_cndmask_b32_e64 v13, 0, 1, vcc_lo
	v_cmp_ne_u32_e32 vcc_lo, v6, v16
	v_lshl_or_b32 v16, v14, 12, v10
	v_or_b32_e32 v13, v17, v13
	v_cndmask_b32_e64 v6, 0, 1, vcc_lo
	v_cmp_gt_i32_e32 vcc_lo, 1, v12
	v_or_b32_e32 v6, v18, v6
	v_cndmask_b32_e32 v13, v15, v13, vcc_lo
	v_cmp_gt_i32_e32 vcc_lo, 1, v14
	v_and_b32_e32 v15, 7, v13
	v_cndmask_b32_e32 v6, v16, v6, vcc_lo
	v_cmp_ne_u32_e32 vcc_lo, 0, v2
	v_lshrrev_b32_e32 v13, 2, v13
	v_cmp_eq_u32_e64 s0, 3, v15
	v_and_b32_e32 v16, 7, v6
	v_cndmask_b32_e64 v2, 0, 1, vcc_lo
	v_cmp_ne_u32_e32 vcc_lo, 0, v10
	v_lshrrev_b32_e32 v6, 2, v6
	v_cmp_lt_i32_e64 s1, 5, v16
	v_cmp_eq_u32_e64 s2, 3, v16
	v_cndmask_b32_e64 v10, 0, 1, vcc_lo
	v_cmp_lt_i32_e32 vcc_lo, 5, v15
	v_lshl_or_b32 v2, v2, 9, 0x7c00
	v_lshl_or_b32 v10, v10, 9, 0x7c00
	s_or_b32 vcc_lo, s0, vcc_lo
	v_add_co_ci_u32_e32 v13, vcc_lo, 0, v13, vcc_lo
	s_or_b32 vcc_lo, s2, s1
	v_add_co_ci_u32_e32 v6, vcc_lo, 0, v6, vcc_lo
	v_cmp_gt_i32_e32 vcc_lo, 31, v12
	v_cndmask_b32_e32 v13, 0x7c00, v13, vcc_lo
	v_cmp_gt_i32_e32 vcc_lo, 31, v14
	v_cndmask_b32_e32 v6, 0x7c00, v6, vcc_lo
	v_cmp_eq_u32_e32 vcc_lo, 0x40f, v12
	v_cndmask_b32_e32 v2, v13, v2, vcc_lo
	v_cmp_eq_u32_e32 vcc_lo, 0x40f, v14
	v_and_or_b32 v2, 0x8000, v3, v2
	v_cndmask_b32_e32 v6, v6, v10, vcc_lo
	v_add_co_u32 v0, vcc_lo, v0, s6
	v_add_co_ci_u32_e32 v1, vcc_lo, s7, v1, vcc_lo
	v_and_or_b32 v3, 0x8000, v11, v6
	v_and_b32_e32 v2, 0xffff, v2
	v_lshl_or_b32 v2, v3, 16, v2
	global_store_dword v[0:1], v2, off
	global_load_dword v6, v[4:5], off offset:1668
	ds_read2_b32 v[2:3], v9 offset0:161 offset1:203
	s_waitcnt lgkmcnt(0)
	v_lshrrev_b32_e32 v9, 16, v2
	s_waitcnt vmcnt(0)
	v_mul_f16_sdwa v10, v9, v6 dst_sel:DWORD dst_unused:UNUSED_PAD src0_sel:DWORD src1_sel:WORD_1
	v_mul_f16_sdwa v11, v2, v6 dst_sel:DWORD dst_unused:UNUSED_PAD src0_sel:DWORD src1_sel:WORD_1
	v_fmac_f16_e32 v10, v2, v6
	v_fma_f16 v2, v6, v9, -v11
	v_cvt_f32_f16_e32 v6, v10
	v_cvt_f32_f16_e32 v2, v2
	v_cvt_f64_f32_e32 v[9:10], v6
	v_cvt_f64_f32_e32 v[11:12], v2
	v_mul_f64 v[9:10], v[9:10], s[4:5]
	v_mul_f64 v[11:12], v[11:12], s[4:5]
	v_and_or_b32 v2, 0x1ff, v10, v9
	v_and_or_b32 v11, 0x1ff, v12, v11
	v_lshrrev_b32_e32 v6, 8, v10
	v_bfe_u32 v9, v10, 20, 11
	v_lshrrev_b32_e32 v13, 8, v12
	v_cmp_ne_u32_e32 vcc_lo, 0, v2
	v_bfe_u32 v14, v12, 20, 11
	v_lshrrev_b32_e32 v10, 16, v10
	v_sub_nc_u32_e32 v15, 0x3f1, v9
	v_add_nc_u32_e32 v9, 0xfffffc10, v9
	v_cndmask_b32_e64 v2, 0, 1, vcc_lo
	v_cmp_ne_u32_e32 vcc_lo, 0, v11
	v_and_or_b32 v2, 0xffe, v6, v2
	v_cndmask_b32_e64 v11, 0, 1, vcc_lo
	v_sub_nc_u32_e32 v6, 0x3f1, v14
	v_add_nc_u32_e32 v14, 0xfffffc10, v14
	v_and_or_b32 v11, 0xffe, v13, v11
	v_med3_i32 v13, v15, 0, 13
	v_or_b32_e32 v15, 0x1000, v2
	v_med3_i32 v6, v6, 0, 13
	v_or_b32_e32 v16, 0x1000, v11
	v_lshrrev_b32_e32 v17, v13, v15
	v_lshrrev_b32_e32 v18, v6, v16
	v_lshlrev_b32_e32 v13, v13, v17
	v_lshlrev_b32_e32 v6, v6, v18
	v_cmp_ne_u32_e32 vcc_lo, v13, v15
	v_lshl_or_b32 v15, v9, 12, v2
	v_cndmask_b32_e64 v13, 0, 1, vcc_lo
	v_cmp_ne_u32_e32 vcc_lo, v6, v16
	v_lshl_or_b32 v16, v14, 12, v11
	v_or_b32_e32 v13, v17, v13
	v_cndmask_b32_e64 v6, 0, 1, vcc_lo
	v_cmp_gt_i32_e32 vcc_lo, 1, v9
	v_or_b32_e32 v6, v18, v6
	v_cndmask_b32_e32 v13, v15, v13, vcc_lo
	v_cmp_gt_i32_e32 vcc_lo, 1, v14
	v_and_b32_e32 v15, 7, v13
	v_cndmask_b32_e32 v6, v16, v6, vcc_lo
	v_cmp_ne_u32_e32 vcc_lo, 0, v2
	v_lshrrev_b32_e32 v13, 2, v13
	v_cmp_eq_u32_e64 s0, 3, v15
	v_and_b32_e32 v16, 7, v6
	v_cndmask_b32_e64 v2, 0, 1, vcc_lo
	v_cmp_ne_u32_e32 vcc_lo, 0, v11
	v_lshrrev_b32_e32 v6, 2, v6
	v_cmp_lt_i32_e64 s1, 5, v16
	v_cmp_eq_u32_e64 s2, 3, v16
	v_cndmask_b32_e64 v11, 0, 1, vcc_lo
	v_cmp_lt_i32_e32 vcc_lo, 5, v15
	v_lshl_or_b32 v2, v2, 9, 0x7c00
	v_lshl_or_b32 v11, v11, 9, 0x7c00
	s_or_b32 vcc_lo, s0, vcc_lo
	v_add_co_ci_u32_e32 v13, vcc_lo, 0, v13, vcc_lo
	s_or_b32 vcc_lo, s2, s1
	v_add_co_ci_u32_e32 v6, vcc_lo, 0, v6, vcc_lo
	v_cmp_gt_i32_e32 vcc_lo, 31, v9
	v_cndmask_b32_e32 v13, 0x7c00, v13, vcc_lo
	v_cmp_gt_i32_e32 vcc_lo, 31, v14
	v_cndmask_b32_e32 v6, 0x7c00, v6, vcc_lo
	v_cmp_eq_u32_e32 vcc_lo, 0x40f, v9
	v_lshrrev_b32_e32 v9, 16, v12
	v_cndmask_b32_e32 v2, v13, v2, vcc_lo
	v_cmp_eq_u32_e32 vcc_lo, 0x40f, v14
	v_and_or_b32 v2, 0x8000, v10, v2
	v_cndmask_b32_e32 v6, v6, v11, vcc_lo
	v_add_co_u32 v0, vcc_lo, v0, s6
	v_add_co_ci_u32_e32 v1, vcc_lo, s7, v1, vcc_lo
	v_and_or_b32 v6, 0x8000, v9, v6
	v_and_b32_e32 v2, 0xffff, v2
	v_lshl_or_b32 v2, v6, 16, v2
	v_lshrrev_b32_e32 v6, 16, v3
	global_store_dword v[0:1], v2, off
	global_load_dword v2, v[4:5], off offset:1836
	s_waitcnt vmcnt(0)
	v_mul_f16_sdwa v9, v6, v2 dst_sel:DWORD dst_unused:UNUSED_PAD src0_sel:DWORD src1_sel:WORD_1
	v_mul_f16_sdwa v10, v3, v2 dst_sel:DWORD dst_unused:UNUSED_PAD src0_sel:DWORD src1_sel:WORD_1
	v_fmac_f16_e32 v9, v3, v2
	v_fma_f16 v2, v2, v6, -v10
	v_cvt_f32_f16_e32 v3, v9
	v_cvt_f32_f16_e32 v6, v2
	v_cvt_f64_f32_e32 v[2:3], v3
	v_cvt_f64_f32_e32 v[9:10], v6
	v_mul_f64 v[2:3], v[2:3], s[4:5]
	v_mul_f64 v[9:10], v[9:10], s[4:5]
	v_and_or_b32 v2, 0x1ff, v3, v2
	v_and_or_b32 v9, 0x1ff, v10, v9
	v_lshrrev_b32_e32 v6, 8, v3
	v_bfe_u32 v11, v3, 20, 11
	v_lshrrev_b32_e32 v12, 8, v10
	v_cmp_ne_u32_e32 vcc_lo, 0, v2
	v_bfe_u32 v13, v10, 20, 11
	v_lshrrev_b32_e32 v3, 16, v3
	v_sub_nc_u32_e32 v14, 0x3f1, v11
	v_add_nc_u32_e32 v11, 0xfffffc10, v11
	v_cndmask_b32_e64 v2, 0, 1, vcc_lo
	v_cmp_ne_u32_e32 vcc_lo, 0, v9
	v_lshrrev_b32_e32 v10, 16, v10
	v_and_or_b32 v2, 0xffe, v6, v2
	v_cndmask_b32_e64 v9, 0, 1, vcc_lo
	v_sub_nc_u32_e32 v6, 0x3f1, v13
	v_add_nc_u32_e32 v13, 0xfffffc10, v13
	v_and_or_b32 v9, 0xffe, v12, v9
	v_med3_i32 v12, v14, 0, 13
	v_or_b32_e32 v14, 0x1000, v2
	v_med3_i32 v6, v6, 0, 13
	v_or_b32_e32 v15, 0x1000, v9
	v_lshrrev_b32_e32 v16, v12, v14
	v_lshrrev_b32_e32 v17, v6, v15
	v_lshlrev_b32_e32 v12, v12, v16
	v_lshlrev_b32_e32 v6, v6, v17
	v_cmp_ne_u32_e32 vcc_lo, v12, v14
	v_lshl_or_b32 v14, v11, 12, v2
	v_cndmask_b32_e64 v12, 0, 1, vcc_lo
	v_cmp_ne_u32_e32 vcc_lo, v6, v15
	v_lshl_or_b32 v15, v13, 12, v9
	v_or_b32_e32 v12, v16, v12
	v_cndmask_b32_e64 v6, 0, 1, vcc_lo
	v_cmp_gt_i32_e32 vcc_lo, 1, v11
	v_or_b32_e32 v6, v17, v6
	v_cndmask_b32_e32 v12, v14, v12, vcc_lo
	v_cmp_gt_i32_e32 vcc_lo, 1, v13
	v_and_b32_e32 v14, 7, v12
	v_cndmask_b32_e32 v6, v15, v6, vcc_lo
	v_cmp_ne_u32_e32 vcc_lo, 0, v2
	v_lshrrev_b32_e32 v12, 2, v12
	v_cmp_eq_u32_e64 s0, 3, v14
	v_and_b32_e32 v15, 7, v6
	v_cndmask_b32_e64 v2, 0, 1, vcc_lo
	v_cmp_ne_u32_e32 vcc_lo, 0, v9
	v_lshrrev_b32_e32 v6, 2, v6
	v_cmp_lt_i32_e64 s1, 5, v15
	v_cmp_eq_u32_e64 s2, 3, v15
	v_cndmask_b32_e64 v9, 0, 1, vcc_lo
	v_cmp_lt_i32_e32 vcc_lo, 5, v14
	v_lshl_or_b32 v2, v2, 9, 0x7c00
	v_lshl_or_b32 v9, v9, 9, 0x7c00
	s_or_b32 vcc_lo, s0, vcc_lo
	v_add_co_ci_u32_e32 v12, vcc_lo, 0, v12, vcc_lo
	s_or_b32 vcc_lo, s2, s1
	v_add_co_ci_u32_e32 v6, vcc_lo, 0, v6, vcc_lo
	v_cmp_gt_i32_e32 vcc_lo, 31, v11
	v_cndmask_b32_e32 v12, 0x7c00, v12, vcc_lo
	v_cmp_gt_i32_e32 vcc_lo, 31, v13
	v_cndmask_b32_e32 v6, 0x7c00, v6, vcc_lo
	v_cmp_eq_u32_e32 vcc_lo, 0x40f, v11
	v_cndmask_b32_e32 v2, v12, v2, vcc_lo
	v_cmp_eq_u32_e32 vcc_lo, 0x40f, v13
	v_and_or_b32 v2, 0x8000, v3, v2
	v_cndmask_b32_e32 v6, v6, v9, vcc_lo
	v_add_co_u32 v0, vcc_lo, v0, s6
	v_add_co_ci_u32_e32 v1, vcc_lo, s7, v1, vcc_lo
	v_and_or_b32 v3, 0x8000, v10, v6
	v_and_b32_e32 v2, 0xffff, v2
	v_lshl_or_b32 v2, v3, 16, v2
	global_store_dword v[0:1], v2, off
	global_load_dword v4, v[4:5], off offset:2004
	v_add_nc_u32_e32 v2, 0x600, v45
	ds_read2_b32 v[2:3], v2 offset0:117 offset1:159
	s_waitcnt lgkmcnt(0)
	v_lshrrev_b32_e32 v5, 16, v2
	s_waitcnt vmcnt(0)
	v_mul_f16_sdwa v6, v5, v4 dst_sel:DWORD dst_unused:UNUSED_PAD src0_sel:DWORD src1_sel:WORD_1
	v_mul_f16_sdwa v9, v2, v4 dst_sel:DWORD dst_unused:UNUSED_PAD src0_sel:DWORD src1_sel:WORD_1
	v_fmac_f16_e32 v6, v2, v4
	v_fma_f16 v2, v4, v5, -v9
	v_cvt_f32_f16_e32 v4, v6
	v_cvt_f32_f16_e32 v2, v2
	v_cvt_f64_f32_e32 v[4:5], v4
	v_cvt_f64_f32_e32 v[9:10], v2
	v_mul_f64 v[4:5], v[4:5], s[4:5]
	v_mul_f64 v[9:10], v[9:10], s[4:5]
	v_and_or_b32 v2, 0x1ff, v5, v4
	v_and_or_b32 v9, 0x1ff, v10, v9
	v_lshrrev_b32_e32 v4, 8, v5
	v_bfe_u32 v6, v5, 20, 11
	v_lshrrev_b32_e32 v11, 8, v10
	v_cmp_ne_u32_e32 vcc_lo, 0, v2
	v_bfe_u32 v12, v10, 20, 11
	v_lshrrev_b32_e32 v5, 16, v5
	v_sub_nc_u32_e32 v13, 0x3f1, v6
	v_add_nc_u32_e32 v6, 0xfffffc10, v6
	v_cndmask_b32_e64 v2, 0, 1, vcc_lo
	v_cmp_ne_u32_e32 vcc_lo, 0, v9
	v_and_or_b32 v2, 0xffe, v4, v2
	v_cndmask_b32_e64 v9, 0, 1, vcc_lo
	v_sub_nc_u32_e32 v4, 0x3f1, v12
	v_add_nc_u32_e32 v12, 0xfffffc10, v12
	v_and_or_b32 v9, 0xffe, v11, v9
	v_med3_i32 v11, v13, 0, 13
	v_or_b32_e32 v13, 0x1000, v2
	v_med3_i32 v4, v4, 0, 13
	v_or_b32_e32 v14, 0x1000, v9
	v_lshrrev_b32_e32 v15, v11, v13
	v_lshrrev_b32_e32 v16, v4, v14
	v_lshlrev_b32_e32 v11, v11, v15
	v_lshlrev_b32_e32 v4, v4, v16
	v_cmp_ne_u32_e32 vcc_lo, v11, v13
	v_lshl_or_b32 v13, v6, 12, v2
	v_cndmask_b32_e64 v11, 0, 1, vcc_lo
	v_cmp_ne_u32_e32 vcc_lo, v4, v14
	v_lshl_or_b32 v14, v12, 12, v9
	v_or_b32_e32 v11, v15, v11
	v_cndmask_b32_e64 v4, 0, 1, vcc_lo
	v_cmp_gt_i32_e32 vcc_lo, 1, v6
	v_or_b32_e32 v4, v16, v4
	v_cndmask_b32_e32 v11, v13, v11, vcc_lo
	v_cmp_gt_i32_e32 vcc_lo, 1, v12
	v_and_b32_e32 v13, 7, v11
	v_cndmask_b32_e32 v4, v14, v4, vcc_lo
	v_cmp_ne_u32_e32 vcc_lo, 0, v2
	v_lshrrev_b32_e32 v11, 2, v11
	v_cmp_eq_u32_e64 s0, 3, v13
	v_and_b32_e32 v14, 7, v4
	v_cndmask_b32_e64 v2, 0, 1, vcc_lo
	v_cmp_ne_u32_e32 vcc_lo, 0, v9
	v_lshrrev_b32_e32 v4, 2, v4
	v_cmp_lt_i32_e64 s1, 5, v14
	v_cmp_eq_u32_e64 s2, 3, v14
	v_cndmask_b32_e64 v9, 0, 1, vcc_lo
	v_cmp_lt_i32_e32 vcc_lo, 5, v13
	v_lshl_or_b32 v2, v2, 9, 0x7c00
	v_lshl_or_b32 v9, v9, 9, 0x7c00
	s_or_b32 vcc_lo, s0, vcc_lo
	v_add_co_ci_u32_e32 v11, vcc_lo, 0, v11, vcc_lo
	s_or_b32 vcc_lo, s2, s1
	v_add_co_ci_u32_e32 v4, vcc_lo, 0, v4, vcc_lo
	v_cmp_gt_i32_e32 vcc_lo, 31, v6
	v_cndmask_b32_e32 v11, 0x7c00, v11, vcc_lo
	v_cmp_gt_i32_e32 vcc_lo, 31, v12
	v_cndmask_b32_e32 v4, 0x7c00, v4, vcc_lo
	v_cmp_eq_u32_e32 vcc_lo, 0x40f, v6
	v_lshrrev_b32_e32 v6, 16, v10
	v_cndmask_b32_e32 v2, v11, v2, vcc_lo
	v_cmp_eq_u32_e32 vcc_lo, 0x40f, v12
	v_and_or_b32 v2, 0x8000, v5, v2
	v_cndmask_b32_e32 v4, v4, v9, vcc_lo
	v_add_co_u32 v0, vcc_lo, v0, s6
	v_add_co_ci_u32_e32 v1, vcc_lo, s7, v1, vcc_lo
	v_and_or_b32 v4, 0x8000, v6, v4
	v_and_b32_e32 v2, 0xffff, v2
	v_lshl_or_b32 v2, v4, 16, v2
	v_lshrrev_b32_e32 v4, 16, v3
	global_store_dword v[0:1], v2, off
	global_load_dword v2, v[7:8], off offset:124
	s_waitcnt vmcnt(0)
	v_mul_f16_sdwa v5, v4, v2 dst_sel:DWORD dst_unused:UNUSED_PAD src0_sel:DWORD src1_sel:WORD_1
	v_mul_f16_sdwa v6, v3, v2 dst_sel:DWORD dst_unused:UNUSED_PAD src0_sel:DWORD src1_sel:WORD_1
	v_fmac_f16_e32 v5, v3, v2
	v_fma_f16 v2, v2, v4, -v6
	v_cvt_f32_f16_e32 v3, v5
	v_cvt_f32_f16_e32 v4, v2
	v_cvt_f64_f32_e32 v[2:3], v3
	v_cvt_f64_f32_e32 v[4:5], v4
	v_mul_f64 v[2:3], v[2:3], s[4:5]
	v_mul_f64 v[4:5], v[4:5], s[4:5]
	v_and_or_b32 v2, 0x1ff, v3, v2
	v_and_or_b32 v4, 0x1ff, v5, v4
	v_lshrrev_b32_e32 v6, 8, v3
	v_bfe_u32 v7, v3, 20, 11
	v_lshrrev_b32_e32 v8, 8, v5
	v_cmp_ne_u32_e32 vcc_lo, 0, v2
	v_bfe_u32 v9, v5, 20, 11
	v_lshrrev_b32_e32 v3, 16, v3
	v_sub_nc_u32_e32 v10, 0x3f1, v7
	v_add_nc_u32_e32 v7, 0xfffffc10, v7
	v_cndmask_b32_e64 v2, 0, 1, vcc_lo
	v_cmp_ne_u32_e32 vcc_lo, 0, v4
	v_lshrrev_b32_e32 v5, 16, v5
	v_and_or_b32 v2, 0xffe, v6, v2
	v_cndmask_b32_e64 v4, 0, 1, vcc_lo
	v_sub_nc_u32_e32 v6, 0x3f1, v9
	v_add_nc_u32_e32 v9, 0xfffffc10, v9
	v_and_or_b32 v4, 0xffe, v8, v4
	v_med3_i32 v8, v10, 0, 13
	v_or_b32_e32 v10, 0x1000, v2
	v_med3_i32 v6, v6, 0, 13
	v_or_b32_e32 v11, 0x1000, v4
	v_lshrrev_b32_e32 v12, v8, v10
	v_lshrrev_b32_e32 v13, v6, v11
	v_lshlrev_b32_e32 v8, v8, v12
	v_lshlrev_b32_e32 v6, v6, v13
	v_cmp_ne_u32_e32 vcc_lo, v8, v10
	v_lshl_or_b32 v10, v7, 12, v2
	v_cndmask_b32_e64 v8, 0, 1, vcc_lo
	v_cmp_ne_u32_e32 vcc_lo, v6, v11
	v_lshl_or_b32 v11, v9, 12, v4
	v_or_b32_e32 v8, v12, v8
	v_cndmask_b32_e64 v6, 0, 1, vcc_lo
	v_cmp_gt_i32_e32 vcc_lo, 1, v7
	v_or_b32_e32 v6, v13, v6
	v_cndmask_b32_e32 v8, v10, v8, vcc_lo
	v_cmp_gt_i32_e32 vcc_lo, 1, v9
	v_and_b32_e32 v10, 7, v8
	v_cndmask_b32_e32 v6, v11, v6, vcc_lo
	v_cmp_ne_u32_e32 vcc_lo, 0, v2
	v_lshrrev_b32_e32 v8, 2, v8
	v_cmp_eq_u32_e64 s0, 3, v10
	v_and_b32_e32 v11, 7, v6
	v_cndmask_b32_e64 v2, 0, 1, vcc_lo
	v_cmp_ne_u32_e32 vcc_lo, 0, v4
	v_lshrrev_b32_e32 v6, 2, v6
	v_cmp_lt_i32_e64 s1, 5, v11
	v_cmp_eq_u32_e64 s2, 3, v11
	v_cndmask_b32_e64 v4, 0, 1, vcc_lo
	v_cmp_lt_i32_e32 vcc_lo, 5, v10
	v_lshl_or_b32 v2, v2, 9, 0x7c00
	v_lshl_or_b32 v4, v4, 9, 0x7c00
	s_or_b32 vcc_lo, s0, vcc_lo
	v_add_co_ci_u32_e32 v8, vcc_lo, 0, v8, vcc_lo
	s_or_b32 vcc_lo, s2, s1
	v_add_co_ci_u32_e32 v6, vcc_lo, 0, v6, vcc_lo
	v_cmp_gt_i32_e32 vcc_lo, 31, v7
	v_cndmask_b32_e32 v8, 0x7c00, v8, vcc_lo
	v_cmp_gt_i32_e32 vcc_lo, 31, v9
	v_cndmask_b32_e32 v6, 0x7c00, v6, vcc_lo
	v_cmp_eq_u32_e32 vcc_lo, 0x40f, v7
	v_cndmask_b32_e32 v2, v8, v2, vcc_lo
	v_cmp_eq_u32_e32 vcc_lo, 0x40f, v9
	v_and_or_b32 v2, 0x8000, v3, v2
	v_cndmask_b32_e32 v4, v6, v4, vcc_lo
	v_add_co_u32 v0, vcc_lo, v0, s6
	v_add_co_ci_u32_e32 v1, vcc_lo, s7, v1, vcc_lo
	v_and_or_b32 v3, 0x8000, v5, v4
	v_and_b32_e32 v2, 0xffff, v2
	v_lshl_or_b32 v2, v3, 16, v2
	global_store_dword v[0:1], v2, off
.LBB0_23:
	s_endpgm
	.section	.rodata,"a",@progbits
	.p2align	6, 0x0
	.amdhsa_kernel bluestein_single_fwd_len546_dim1_half_op_CI_CI
		.amdhsa_group_segment_fixed_size 6552
		.amdhsa_private_segment_fixed_size 0
		.amdhsa_kernarg_size 104
		.amdhsa_user_sgpr_count 6
		.amdhsa_user_sgpr_private_segment_buffer 1
		.amdhsa_user_sgpr_dispatch_ptr 0
		.amdhsa_user_sgpr_queue_ptr 0
		.amdhsa_user_sgpr_kernarg_segment_ptr 1
		.amdhsa_user_sgpr_dispatch_id 0
		.amdhsa_user_sgpr_flat_scratch_init 0
		.amdhsa_user_sgpr_private_segment_size 0
		.amdhsa_wavefront_size32 1
		.amdhsa_uses_dynamic_stack 0
		.amdhsa_system_sgpr_private_segment_wavefront_offset 0
		.amdhsa_system_sgpr_workgroup_id_x 1
		.amdhsa_system_sgpr_workgroup_id_y 0
		.amdhsa_system_sgpr_workgroup_id_z 0
		.amdhsa_system_sgpr_workgroup_info 0
		.amdhsa_system_vgpr_workitem_id 0
		.amdhsa_next_free_vgpr 168
		.amdhsa_next_free_sgpr 16
		.amdhsa_reserve_vcc 1
		.amdhsa_reserve_flat_scratch 0
		.amdhsa_float_round_mode_32 0
		.amdhsa_float_round_mode_16_64 0
		.amdhsa_float_denorm_mode_32 3
		.amdhsa_float_denorm_mode_16_64 3
		.amdhsa_dx10_clamp 1
		.amdhsa_ieee_mode 1
		.amdhsa_fp16_overflow 0
		.amdhsa_workgroup_processor_mode 1
		.amdhsa_memory_ordered 1
		.amdhsa_forward_progress 0
		.amdhsa_shared_vgpr_count 0
		.amdhsa_exception_fp_ieee_invalid_op 0
		.amdhsa_exception_fp_denorm_src 0
		.amdhsa_exception_fp_ieee_div_zero 0
		.amdhsa_exception_fp_ieee_overflow 0
		.amdhsa_exception_fp_ieee_underflow 0
		.amdhsa_exception_fp_ieee_inexact 0
		.amdhsa_exception_int_div_zero 0
	.end_amdhsa_kernel
	.text
.Lfunc_end0:
	.size	bluestein_single_fwd_len546_dim1_half_op_CI_CI, .Lfunc_end0-bluestein_single_fwd_len546_dim1_half_op_CI_CI
                                        ; -- End function
	.section	.AMDGPU.csdata,"",@progbits
; Kernel info:
; codeLenInByte = 39716
; NumSgprs: 18
; NumVgprs: 168
; ScratchSize: 0
; MemoryBound: 0
; FloatMode: 240
; IeeeMode: 1
; LDSByteSize: 6552 bytes/workgroup (compile time only)
; SGPRBlocks: 2
; VGPRBlocks: 20
; NumSGPRsForWavesPerEU: 18
; NumVGPRsForWavesPerEU: 168
; Occupancy: 5
; WaveLimiterHint : 1
; COMPUTE_PGM_RSRC2:SCRATCH_EN: 0
; COMPUTE_PGM_RSRC2:USER_SGPR: 6
; COMPUTE_PGM_RSRC2:TRAP_HANDLER: 0
; COMPUTE_PGM_RSRC2:TGID_X_EN: 1
; COMPUTE_PGM_RSRC2:TGID_Y_EN: 0
; COMPUTE_PGM_RSRC2:TGID_Z_EN: 0
; COMPUTE_PGM_RSRC2:TIDIG_COMP_CNT: 0
	.text
	.p2alignl 6, 3214868480
	.fill 48, 4, 3214868480
	.type	__hip_cuid_69992577a914c0f0,@object ; @__hip_cuid_69992577a914c0f0
	.section	.bss,"aw",@nobits
	.globl	__hip_cuid_69992577a914c0f0
__hip_cuid_69992577a914c0f0:
	.byte	0                               ; 0x0
	.size	__hip_cuid_69992577a914c0f0, 1

	.ident	"AMD clang version 19.0.0git (https://github.com/RadeonOpenCompute/llvm-project roc-6.4.0 25133 c7fe45cf4b819c5991fe208aaa96edf142730f1d)"
	.section	".note.GNU-stack","",@progbits
	.addrsig
	.addrsig_sym __hip_cuid_69992577a914c0f0
	.amdgpu_metadata
---
amdhsa.kernels:
  - .args:
      - .actual_access:  read_only
        .address_space:  global
        .offset:         0
        .size:           8
        .value_kind:     global_buffer
      - .actual_access:  read_only
        .address_space:  global
        .offset:         8
        .size:           8
        .value_kind:     global_buffer
      - .actual_access:  read_only
        .address_space:  global
        .offset:         16
        .size:           8
        .value_kind:     global_buffer
      - .actual_access:  read_only
        .address_space:  global
        .offset:         24
        .size:           8
        .value_kind:     global_buffer
      - .actual_access:  read_only
        .address_space:  global
        .offset:         32
        .size:           8
        .value_kind:     global_buffer
      - .offset:         40
        .size:           8
        .value_kind:     by_value
      - .address_space:  global
        .offset:         48
        .size:           8
        .value_kind:     global_buffer
      - .address_space:  global
        .offset:         56
        .size:           8
        .value_kind:     global_buffer
      - .address_space:  global
        .offset:         64
        .size:           8
        .value_kind:     global_buffer
      - .address_space:  global
        .offset:         72
        .size:           8
        .value_kind:     global_buffer
      - .offset:         80
        .size:           4
        .value_kind:     by_value
      - .address_space:  global
        .offset:         88
        .size:           8
        .value_kind:     global_buffer
      - .address_space:  global
        .offset:         96
        .size:           8
        .value_kind:     global_buffer
    .group_segment_fixed_size: 6552
    .kernarg_segment_align: 8
    .kernarg_segment_size: 104
    .language:       OpenCL C
    .language_version:
      - 2
      - 0
    .max_flat_workgroup_size: 117
    .name:           bluestein_single_fwd_len546_dim1_half_op_CI_CI
    .private_segment_fixed_size: 0
    .sgpr_count:     18
    .sgpr_spill_count: 0
    .symbol:         bluestein_single_fwd_len546_dim1_half_op_CI_CI.kd
    .uniform_work_group_size: 1
    .uses_dynamic_stack: false
    .vgpr_count:     168
    .vgpr_spill_count: 0
    .wavefront_size: 32
    .workgroup_processor_mode: 1
amdhsa.target:   amdgcn-amd-amdhsa--gfx1030
amdhsa.version:
  - 1
  - 2
...

	.end_amdgpu_metadata
